;; amdgpu-corpus repo=ROCm/rocSOLVER kind=compiled arch=gfx1030 opt=O3
	.amdgcn_target "amdgcn-amd-amdhsa--gfx1030"
	.amdhsa_code_object_version 6
	.section	.text._ZN9rocsolver6v33100L10reset_infoIiiiEEvPT_T0_T1_S4_,"axG",@progbits,_ZN9rocsolver6v33100L10reset_infoIiiiEEvPT_T0_T1_S4_,comdat
	.globl	_ZN9rocsolver6v33100L10reset_infoIiiiEEvPT_T0_T1_S4_ ; -- Begin function _ZN9rocsolver6v33100L10reset_infoIiiiEEvPT_T0_T1_S4_
	.p2align	8
	.type	_ZN9rocsolver6v33100L10reset_infoIiiiEEvPT_T0_T1_S4_,@function
_ZN9rocsolver6v33100L10reset_infoIiiiEEvPT_T0_T1_S4_: ; @_ZN9rocsolver6v33100L10reset_infoIiiiEEvPT_T0_T1_S4_
; %bb.0:
	s_clause 0x1
	s_load_dword s7, s[4:5], 0x24
	s_load_dwordx4 s[0:3], s[4:5], 0x8
	s_waitcnt lgkmcnt(0)
	s_and_b32 s3, s7, 0xffff
	v_mad_u64_u32 v[0:1], null, s6, s3, v[0:1]
	v_cmp_gt_i32_e32 vcc_lo, s0, v0
	s_and_saveexec_b32 s0, vcc_lo
	s_cbranch_execz .LBB0_2
; %bb.1:
	s_load_dwordx2 s[4:5], s[4:5], 0x0
	v_ashrrev_i32_e32 v1, 31, v0
	s_mov_b32 s0, s1
	v_mad_u64_u32 v[3:4], null, v0, s2, s[0:1]
	v_lshlrev_b64 v[1:2], 2, v[0:1]
	s_waitcnt lgkmcnt(0)
	v_add_co_u32 v0, vcc_lo, s4, v1
	v_add_co_ci_u32_e64 v1, null, s5, v2, vcc_lo
	global_store_dword v[0:1], v3, off
.LBB0_2:
	s_endpgm
	.section	.rodata,"a",@progbits
	.p2align	6, 0x0
	.amdhsa_kernel _ZN9rocsolver6v33100L10reset_infoIiiiEEvPT_T0_T1_S4_
		.amdhsa_group_segment_fixed_size 0
		.amdhsa_private_segment_fixed_size 0
		.amdhsa_kernarg_size 280
		.amdhsa_user_sgpr_count 6
		.amdhsa_user_sgpr_private_segment_buffer 1
		.amdhsa_user_sgpr_dispatch_ptr 0
		.amdhsa_user_sgpr_queue_ptr 0
		.amdhsa_user_sgpr_kernarg_segment_ptr 1
		.amdhsa_user_sgpr_dispatch_id 0
		.amdhsa_user_sgpr_flat_scratch_init 0
		.amdhsa_user_sgpr_private_segment_size 0
		.amdhsa_wavefront_size32 1
		.amdhsa_uses_dynamic_stack 0
		.amdhsa_system_sgpr_private_segment_wavefront_offset 0
		.amdhsa_system_sgpr_workgroup_id_x 1
		.amdhsa_system_sgpr_workgroup_id_y 0
		.amdhsa_system_sgpr_workgroup_id_z 0
		.amdhsa_system_sgpr_workgroup_info 0
		.amdhsa_system_vgpr_workitem_id 0
		.amdhsa_next_free_vgpr 5
		.amdhsa_next_free_sgpr 8
		.amdhsa_reserve_vcc 1
		.amdhsa_reserve_flat_scratch 0
		.amdhsa_float_round_mode_32 0
		.amdhsa_float_round_mode_16_64 0
		.amdhsa_float_denorm_mode_32 3
		.amdhsa_float_denorm_mode_16_64 3
		.amdhsa_dx10_clamp 1
		.amdhsa_ieee_mode 1
		.amdhsa_fp16_overflow 0
		.amdhsa_workgroup_processor_mode 1
		.amdhsa_memory_ordered 1
		.amdhsa_forward_progress 1
		.amdhsa_shared_vgpr_count 0
		.amdhsa_exception_fp_ieee_invalid_op 0
		.amdhsa_exception_fp_denorm_src 0
		.amdhsa_exception_fp_ieee_div_zero 0
		.amdhsa_exception_fp_ieee_overflow 0
		.amdhsa_exception_fp_ieee_underflow 0
		.amdhsa_exception_fp_ieee_inexact 0
		.amdhsa_exception_int_div_zero 0
	.end_amdhsa_kernel
	.section	.text._ZN9rocsolver6v33100L10reset_infoIiiiEEvPT_T0_T1_S4_,"axG",@progbits,_ZN9rocsolver6v33100L10reset_infoIiiiEEvPT_T0_T1_S4_,comdat
.Lfunc_end0:
	.size	_ZN9rocsolver6v33100L10reset_infoIiiiEEvPT_T0_T1_S4_, .Lfunc_end0-_ZN9rocsolver6v33100L10reset_infoIiiiEEvPT_T0_T1_S4_
                                        ; -- End function
	.set _ZN9rocsolver6v33100L10reset_infoIiiiEEvPT_T0_T1_S4_.num_vgpr, 5
	.set _ZN9rocsolver6v33100L10reset_infoIiiiEEvPT_T0_T1_S4_.num_agpr, 0
	.set _ZN9rocsolver6v33100L10reset_infoIiiiEEvPT_T0_T1_S4_.numbered_sgpr, 8
	.set _ZN9rocsolver6v33100L10reset_infoIiiiEEvPT_T0_T1_S4_.num_named_barrier, 0
	.set _ZN9rocsolver6v33100L10reset_infoIiiiEEvPT_T0_T1_S4_.private_seg_size, 0
	.set _ZN9rocsolver6v33100L10reset_infoIiiiEEvPT_T0_T1_S4_.uses_vcc, 1
	.set _ZN9rocsolver6v33100L10reset_infoIiiiEEvPT_T0_T1_S4_.uses_flat_scratch, 0
	.set _ZN9rocsolver6v33100L10reset_infoIiiiEEvPT_T0_T1_S4_.has_dyn_sized_stack, 0
	.set _ZN9rocsolver6v33100L10reset_infoIiiiEEvPT_T0_T1_S4_.has_recursion, 0
	.set _ZN9rocsolver6v33100L10reset_infoIiiiEEvPT_T0_T1_S4_.has_indirect_call, 0
	.section	.AMDGPU.csdata,"",@progbits
; Kernel info:
; codeLenInByte = 116
; TotalNumSgprs: 10
; NumVgprs: 5
; ScratchSize: 0
; MemoryBound: 0
; FloatMode: 240
; IeeeMode: 1
; LDSByteSize: 0 bytes/workgroup (compile time only)
; SGPRBlocks: 0
; VGPRBlocks: 0
; NumSGPRsForWavesPerEU: 10
; NumVGPRsForWavesPerEU: 5
; Occupancy: 16
; WaveLimiterHint : 0
; COMPUTE_PGM_RSRC2:SCRATCH_EN: 0
; COMPUTE_PGM_RSRC2:USER_SGPR: 6
; COMPUTE_PGM_RSRC2:TRAP_HANDLER: 0
; COMPUTE_PGM_RSRC2:TGID_X_EN: 1
; COMPUTE_PGM_RSRC2:TGID_Y_EN: 0
; COMPUTE_PGM_RSRC2:TGID_Z_EN: 0
; COMPUTE_PGM_RSRC2:TIDIG_COMP_CNT: 0
	.section	.text._ZN9rocsolver6v33100L16reset_batch_infoIfiiPfEEvT2_lT0_T1_,"axG",@progbits,_ZN9rocsolver6v33100L16reset_batch_infoIfiiPfEEvT2_lT0_T1_,comdat
	.globl	_ZN9rocsolver6v33100L16reset_batch_infoIfiiPfEEvT2_lT0_T1_ ; -- Begin function _ZN9rocsolver6v33100L16reset_batch_infoIfiiPfEEvT2_lT0_T1_
	.p2align	8
	.type	_ZN9rocsolver6v33100L16reset_batch_infoIfiiPfEEvT2_lT0_T1_,@function
_ZN9rocsolver6v33100L16reset_batch_infoIfiiPfEEvT2_lT0_T1_: ; @_ZN9rocsolver6v33100L16reset_batch_infoIfiiPfEEvT2_lT0_T1_
; %bb.0:
	s_clause 0x1
	s_load_dword s2, s[4:5], 0x24
	s_load_dwordx2 s[0:1], s[4:5], 0x10
	s_waitcnt lgkmcnt(0)
	s_and_b32 s2, s2, 0xffff
	v_mad_u64_u32 v[0:1], null, s6, s2, v[0:1]
	v_cmp_gt_i32_e32 vcc_lo, s0, v0
	s_and_saveexec_b32 s0, vcc_lo
	s_cbranch_execz .LBB1_2
; %bb.1:
	s_load_dwordx4 s[8:11], s[4:5], 0x0
	s_ashr_i32 s0, s7, 31
	v_ashrrev_i32_e32 v1, 31, v0
	v_cvt_f32_i32_e32 v2, s1
	v_lshlrev_b64 v[0:1], 2, v[0:1]
	s_waitcnt lgkmcnt(0)
	s_mul_hi_u32 s2, s10, s7
	s_mul_i32 s0, s10, s0
	s_mul_i32 s3, s11, s7
	s_add_i32 s0, s2, s0
	s_mul_i32 s2, s10, s7
	s_add_i32 s3, s0, s3
	s_lshl_b64 s[2:3], s[2:3], 2
	s_add_u32 s0, s8, s2
	s_addc_u32 s2, s9, s3
	v_add_co_u32 v0, vcc_lo, s0, v0
	v_add_co_ci_u32_e64 v1, null, s2, v1, vcc_lo
	global_store_dword v[0:1], v2, off
.LBB1_2:
	s_endpgm
	.section	.rodata,"a",@progbits
	.p2align	6, 0x0
	.amdhsa_kernel _ZN9rocsolver6v33100L16reset_batch_infoIfiiPfEEvT2_lT0_T1_
		.amdhsa_group_segment_fixed_size 0
		.amdhsa_private_segment_fixed_size 0
		.amdhsa_kernarg_size 280
		.amdhsa_user_sgpr_count 6
		.amdhsa_user_sgpr_private_segment_buffer 1
		.amdhsa_user_sgpr_dispatch_ptr 0
		.amdhsa_user_sgpr_queue_ptr 0
		.amdhsa_user_sgpr_kernarg_segment_ptr 1
		.amdhsa_user_sgpr_dispatch_id 0
		.amdhsa_user_sgpr_flat_scratch_init 0
		.amdhsa_user_sgpr_private_segment_size 0
		.amdhsa_wavefront_size32 1
		.amdhsa_uses_dynamic_stack 0
		.amdhsa_system_sgpr_private_segment_wavefront_offset 0
		.amdhsa_system_sgpr_workgroup_id_x 1
		.amdhsa_system_sgpr_workgroup_id_y 1
		.amdhsa_system_sgpr_workgroup_id_z 0
		.amdhsa_system_sgpr_workgroup_info 0
		.amdhsa_system_vgpr_workitem_id 0
		.amdhsa_next_free_vgpr 3
		.amdhsa_next_free_sgpr 12
		.amdhsa_reserve_vcc 1
		.amdhsa_reserve_flat_scratch 0
		.amdhsa_float_round_mode_32 0
		.amdhsa_float_round_mode_16_64 0
		.amdhsa_float_denorm_mode_32 3
		.amdhsa_float_denorm_mode_16_64 3
		.amdhsa_dx10_clamp 1
		.amdhsa_ieee_mode 1
		.amdhsa_fp16_overflow 0
		.amdhsa_workgroup_processor_mode 1
		.amdhsa_memory_ordered 1
		.amdhsa_forward_progress 1
		.amdhsa_shared_vgpr_count 0
		.amdhsa_exception_fp_ieee_invalid_op 0
		.amdhsa_exception_fp_denorm_src 0
		.amdhsa_exception_fp_ieee_div_zero 0
		.amdhsa_exception_fp_ieee_overflow 0
		.amdhsa_exception_fp_ieee_underflow 0
		.amdhsa_exception_fp_ieee_inexact 0
		.amdhsa_exception_int_div_zero 0
	.end_amdhsa_kernel
	.section	.text._ZN9rocsolver6v33100L16reset_batch_infoIfiiPfEEvT2_lT0_T1_,"axG",@progbits,_ZN9rocsolver6v33100L16reset_batch_infoIfiiPfEEvT2_lT0_T1_,comdat
.Lfunc_end1:
	.size	_ZN9rocsolver6v33100L16reset_batch_infoIfiiPfEEvT2_lT0_T1_, .Lfunc_end1-_ZN9rocsolver6v33100L16reset_batch_infoIfiiPfEEvT2_lT0_T1_
                                        ; -- End function
	.set _ZN9rocsolver6v33100L16reset_batch_infoIfiiPfEEvT2_lT0_T1_.num_vgpr, 3
	.set _ZN9rocsolver6v33100L16reset_batch_infoIfiiPfEEvT2_lT0_T1_.num_agpr, 0
	.set _ZN9rocsolver6v33100L16reset_batch_infoIfiiPfEEvT2_lT0_T1_.numbered_sgpr, 12
	.set _ZN9rocsolver6v33100L16reset_batch_infoIfiiPfEEvT2_lT0_T1_.num_named_barrier, 0
	.set _ZN9rocsolver6v33100L16reset_batch_infoIfiiPfEEvT2_lT0_T1_.private_seg_size, 0
	.set _ZN9rocsolver6v33100L16reset_batch_infoIfiiPfEEvT2_lT0_T1_.uses_vcc, 1
	.set _ZN9rocsolver6v33100L16reset_batch_infoIfiiPfEEvT2_lT0_T1_.uses_flat_scratch, 0
	.set _ZN9rocsolver6v33100L16reset_batch_infoIfiiPfEEvT2_lT0_T1_.has_dyn_sized_stack, 0
	.set _ZN9rocsolver6v33100L16reset_batch_infoIfiiPfEEvT2_lT0_T1_.has_recursion, 0
	.set _ZN9rocsolver6v33100L16reset_batch_infoIfiiPfEEvT2_lT0_T1_.has_indirect_call, 0
	.section	.AMDGPU.csdata,"",@progbits
; Kernel info:
; codeLenInByte = 148
; TotalNumSgprs: 14
; NumVgprs: 3
; ScratchSize: 0
; MemoryBound: 0
; FloatMode: 240
; IeeeMode: 1
; LDSByteSize: 0 bytes/workgroup (compile time only)
; SGPRBlocks: 0
; VGPRBlocks: 0
; NumSGPRsForWavesPerEU: 14
; NumVGPRsForWavesPerEU: 3
; Occupancy: 16
; WaveLimiterHint : 0
; COMPUTE_PGM_RSRC2:SCRATCH_EN: 0
; COMPUTE_PGM_RSRC2:USER_SGPR: 6
; COMPUTE_PGM_RSRC2:TRAP_HANDLER: 0
; COMPUTE_PGM_RSRC2:TGID_X_EN: 1
; COMPUTE_PGM_RSRC2:TGID_Y_EN: 1
; COMPUTE_PGM_RSRC2:TGID_Z_EN: 0
; COMPUTE_PGM_RSRC2:TIDIG_COMP_CNT: 0
	.section	.text._ZN9rocsolver6v33100L19stedcx_case1_kernelIfEEv15rocblas_erange_T_S3_PS3_lPiS4_l,"axG",@progbits,_ZN9rocsolver6v33100L19stedcx_case1_kernelIfEEv15rocblas_erange_T_S3_PS3_lPiS4_l,comdat
	.globl	_ZN9rocsolver6v33100L19stedcx_case1_kernelIfEEv15rocblas_erange_T_S3_PS3_lPiS4_l ; -- Begin function _ZN9rocsolver6v33100L19stedcx_case1_kernelIfEEv15rocblas_erange_T_S3_PS3_lPiS4_l
	.p2align	8
	.type	_ZN9rocsolver6v33100L19stedcx_case1_kernelIfEEv15rocblas_erange_T_S3_PS3_lPiS4_l,@function
_ZN9rocsolver6v33100L19stedcx_case1_kernelIfEEv15rocblas_erange_T_S3_PS3_lPiS4_l: ; @_ZN9rocsolver6v33100L19stedcx_case1_kernelIfEEv15rocblas_erange_T_S3_PS3_lPiS4_l
; %bb.0:
	s_load_dwordx8 s[8:15], s[4:5], 0x10
	s_ashr_i32 s7, s6, 31
	s_waitcnt lgkmcnt(0)
	s_mul_hi_u32 s0, s10, s6
	s_mul_i32 s1, s10, s7
	s_mul_i32 s11, s11, s6
	s_add_i32 s16, s0, s1
	s_mul_i32 s10, s10, s6
	s_add_i32 s11, s16, s11
	s_load_dwordx4 s[0:3], s[4:5], 0x0
	s_lshl_b64 s[10:11], s[10:11], 2
	s_add_u32 s8, s8, s10
	s_addc_u32 s9, s9, s11
	s_waitcnt lgkmcnt(0)
	s_load_dword s3, s[8:9], 0x0
	s_cmpk_lg_i32 s0, 0xe8
	s_cselect_b32 s8, -1, 0
	s_and_b32 vcc_lo, exec_lo, s8
	s_cbranch_vccnz .LBB2_2
; %bb.1:
	s_waitcnt lgkmcnt(0)
	v_cmp_nle_f32_e64 s0, s3, s1
	v_cmp_ngt_f32_e64 s1, s3, s2
	s_and_b32 s8, s0, s1
	s_mov_b32 s0, -1
	s_andn2_b32 vcc_lo, exec_lo, s8
	s_cbranch_vccz .LBB2_3
	s_branch .LBB2_4
.LBB2_2:
	s_mov_b32 s0, 0
	s_andn2_b32 vcc_lo, exec_lo, s8
	s_cbranch_vccnz .LBB2_4
.LBB2_3:
	s_load_dwordx2 s[0:1], s[4:5], 0x30
	v_mov_b32_e32 v0, 0
	v_mov_b32_e32 v1, 1
	s_waitcnt lgkmcnt(0)
	v_mov_b32_e32 v2, s3
	s_mul_i32 s2, s0, s7
	s_mul_hi_u32 s4, s0, s6
	s_mul_i32 s1, s1, s6
	s_add_i32 s2, s4, s2
	s_mul_i32 s0, s0, s6
	s_add_i32 s1, s2, s1
	s_lshl_b64 s[0:1], s[0:1], 2
	s_add_u32 s4, s14, s0
	s_addc_u32 s5, s15, s1
	s_lshl_b64 s[0:1], s[6:7], 2
	s_add_u32 s2, s12, s0
	s_addc_u32 s3, s13, s1
	s_mov_b32 s0, 0
	global_store_dword v0, v1, s[2:3]
	global_store_dword v0, v2, s[4:5]
.LBB2_4:
	s_andn2_b32 vcc_lo, exec_lo, s0
	s_cbranch_vccnz .LBB2_6
; %bb.5:
	s_lshl_b64 s[0:1], s[6:7], 2
	v_mov_b32_e32 v0, 0
	s_add_u32 s0, s12, s0
	s_addc_u32 s1, s13, s1
	global_store_dword v0, v0, s[0:1]
.LBB2_6:
	s_endpgm
	.section	.rodata,"a",@progbits
	.p2align	6, 0x0
	.amdhsa_kernel _ZN9rocsolver6v33100L19stedcx_case1_kernelIfEEv15rocblas_erange_T_S3_PS3_lPiS4_l
		.amdhsa_group_segment_fixed_size 0
		.amdhsa_private_segment_fixed_size 0
		.amdhsa_kernarg_size 56
		.amdhsa_user_sgpr_count 6
		.amdhsa_user_sgpr_private_segment_buffer 1
		.amdhsa_user_sgpr_dispatch_ptr 0
		.amdhsa_user_sgpr_queue_ptr 0
		.amdhsa_user_sgpr_kernarg_segment_ptr 1
		.amdhsa_user_sgpr_dispatch_id 0
		.amdhsa_user_sgpr_flat_scratch_init 0
		.amdhsa_user_sgpr_private_segment_size 0
		.amdhsa_wavefront_size32 1
		.amdhsa_uses_dynamic_stack 0
		.amdhsa_system_sgpr_private_segment_wavefront_offset 0
		.amdhsa_system_sgpr_workgroup_id_x 1
		.amdhsa_system_sgpr_workgroup_id_y 0
		.amdhsa_system_sgpr_workgroup_id_z 0
		.amdhsa_system_sgpr_workgroup_info 0
		.amdhsa_system_vgpr_workitem_id 0
		.amdhsa_next_free_vgpr 3
		.amdhsa_next_free_sgpr 17
		.amdhsa_reserve_vcc 1
		.amdhsa_reserve_flat_scratch 0
		.amdhsa_float_round_mode_32 0
		.amdhsa_float_round_mode_16_64 0
		.amdhsa_float_denorm_mode_32 3
		.amdhsa_float_denorm_mode_16_64 3
		.amdhsa_dx10_clamp 1
		.amdhsa_ieee_mode 1
		.amdhsa_fp16_overflow 0
		.amdhsa_workgroup_processor_mode 1
		.amdhsa_memory_ordered 1
		.amdhsa_forward_progress 1
		.amdhsa_shared_vgpr_count 0
		.amdhsa_exception_fp_ieee_invalid_op 0
		.amdhsa_exception_fp_denorm_src 0
		.amdhsa_exception_fp_ieee_div_zero 0
		.amdhsa_exception_fp_ieee_overflow 0
		.amdhsa_exception_fp_ieee_underflow 0
		.amdhsa_exception_fp_ieee_inexact 0
		.amdhsa_exception_int_div_zero 0
	.end_amdhsa_kernel
	.section	.text._ZN9rocsolver6v33100L19stedcx_case1_kernelIfEEv15rocblas_erange_T_S3_PS3_lPiS4_l,"axG",@progbits,_ZN9rocsolver6v33100L19stedcx_case1_kernelIfEEv15rocblas_erange_T_S3_PS3_lPiS4_l,comdat
.Lfunc_end2:
	.size	_ZN9rocsolver6v33100L19stedcx_case1_kernelIfEEv15rocblas_erange_T_S3_PS3_lPiS4_l, .Lfunc_end2-_ZN9rocsolver6v33100L19stedcx_case1_kernelIfEEv15rocblas_erange_T_S3_PS3_lPiS4_l
                                        ; -- End function
	.set _ZN9rocsolver6v33100L19stedcx_case1_kernelIfEEv15rocblas_erange_T_S3_PS3_lPiS4_l.num_vgpr, 3
	.set _ZN9rocsolver6v33100L19stedcx_case1_kernelIfEEv15rocblas_erange_T_S3_PS3_lPiS4_l.num_agpr, 0
	.set _ZN9rocsolver6v33100L19stedcx_case1_kernelIfEEv15rocblas_erange_T_S3_PS3_lPiS4_l.numbered_sgpr, 17
	.set _ZN9rocsolver6v33100L19stedcx_case1_kernelIfEEv15rocblas_erange_T_S3_PS3_lPiS4_l.num_named_barrier, 0
	.set _ZN9rocsolver6v33100L19stedcx_case1_kernelIfEEv15rocblas_erange_T_S3_PS3_lPiS4_l.private_seg_size, 0
	.set _ZN9rocsolver6v33100L19stedcx_case1_kernelIfEEv15rocblas_erange_T_S3_PS3_lPiS4_l.uses_vcc, 1
	.set _ZN9rocsolver6v33100L19stedcx_case1_kernelIfEEv15rocblas_erange_T_S3_PS3_lPiS4_l.uses_flat_scratch, 0
	.set _ZN9rocsolver6v33100L19stedcx_case1_kernelIfEEv15rocblas_erange_T_S3_PS3_lPiS4_l.has_dyn_sized_stack, 0
	.set _ZN9rocsolver6v33100L19stedcx_case1_kernelIfEEv15rocblas_erange_T_S3_PS3_lPiS4_l.has_recursion, 0
	.set _ZN9rocsolver6v33100L19stedcx_case1_kernelIfEEv15rocblas_erange_T_S3_PS3_lPiS4_l.has_indirect_call, 0
	.section	.AMDGPU.csdata,"",@progbits
; Kernel info:
; codeLenInByte = 268
; TotalNumSgprs: 19
; NumVgprs: 3
; ScratchSize: 0
; MemoryBound: 0
; FloatMode: 240
; IeeeMode: 1
; LDSByteSize: 0 bytes/workgroup (compile time only)
; SGPRBlocks: 0
; VGPRBlocks: 0
; NumSGPRsForWavesPerEU: 19
; NumVGPRsForWavesPerEU: 3
; Occupancy: 16
; WaveLimiterHint : 0
; COMPUTE_PGM_RSRC2:SCRATCH_EN: 0
; COMPUTE_PGM_RSRC2:USER_SGPR: 6
; COMPUTE_PGM_RSRC2:TRAP_HANDLER: 0
; COMPUTE_PGM_RSRC2:TGID_X_EN: 1
; COMPUTE_PGM_RSRC2:TGID_Y_EN: 0
; COMPUTE_PGM_RSRC2:TGID_Z_EN: 0
; COMPUTE_PGM_RSRC2:TIDIG_COMP_CNT: 0
	.section	.text._ZN9rocsolver6v33100L10init_identIfPfEEviiT0_iil,"axG",@progbits,_ZN9rocsolver6v33100L10init_identIfPfEEviiT0_iil,comdat
	.globl	_ZN9rocsolver6v33100L10init_identIfPfEEviiT0_iil ; -- Begin function _ZN9rocsolver6v33100L10init_identIfPfEEviiT0_iil
	.p2align	8
	.type	_ZN9rocsolver6v33100L10init_identIfPfEEviiT0_iil,@function
_ZN9rocsolver6v33100L10init_identIfPfEEviiT0_iil: ; @_ZN9rocsolver6v33100L10init_identIfPfEEviiT0_iil
; %bb.0:
	s_clause 0x1
	s_load_dword s2, s[4:5], 0x2c
	s_load_dwordx2 s[0:1], s[4:5], 0x0
	s_waitcnt lgkmcnt(0)
	s_lshr_b32 s3, s2, 16
	s_and_b32 s2, s2, 0xffff
	v_mad_u64_u32 v[2:3], null, s6, s2, v[0:1]
	v_mad_u64_u32 v[3:4], null, s7, s3, v[1:2]
	v_cmp_gt_u32_e32 vcc_lo, s0, v2
	v_cmp_gt_u32_e64 s0, s1, v3
	s_and_b32 s0, vcc_lo, s0
	s_and_saveexec_b32 s1, s0
	s_cbranch_execz .LBB3_6
; %bb.1:
	s_load_dwordx2 s[0:1], s[4:5], 0x10
	s_mov_b32 s2, exec_lo
                                        ; implicit-def: $vgpr0
	v_cmpx_ne_u32_e64 v2, v3
	s_xor_b32 s2, exec_lo, s2
	s_cbranch_execz .LBB3_3
; %bb.2:
	s_waitcnt lgkmcnt(0)
	v_mad_u64_u32 v[0:1], null, v3, s1, v[2:3]
                                        ; implicit-def: $vgpr2_vgpr3
.LBB3_3:
	s_or_saveexec_b32 s2, s2
	v_mov_b32_e32 v1, 0
	v_mov_b32_e32 v3, 0
	s_xor_b32 exec_lo, exec_lo, s2
	s_cbranch_execz .LBB3_5
; %bb.4:
	s_waitcnt lgkmcnt(0)
	v_mad_u64_u32 v[2:3], null, v2, s1, v[2:3]
	v_mov_b32_e32 v3, 1.0
	v_mov_b32_e32 v0, v2
.LBB3_5:
	s_or_b32 exec_lo, exec_lo, s2
	s_clause 0x1
	s_load_dwordx2 s[2:3], s[4:5], 0x18
	s_load_dwordx2 s[4:5], s[4:5], 0x8
	v_lshlrev_b64 v[0:1], 2, v[0:1]
	s_waitcnt lgkmcnt(0)
	s_mul_i32 s1, s3, s8
	s_mul_hi_u32 s3, s2, s8
	s_mul_i32 s2, s2, s8
	s_add_i32 s3, s3, s1
	s_ashr_i32 s1, s0, 31
	s_lshl_b64 s[2:3], s[2:3], 2
	s_add_u32 s2, s4, s2
	s_addc_u32 s3, s5, s3
	s_lshl_b64 s[0:1], s[0:1], 2
	s_add_u32 s0, s2, s0
	s_addc_u32 s1, s3, s1
	v_add_co_u32 v0, vcc_lo, s0, v0
	v_add_co_ci_u32_e64 v1, null, s1, v1, vcc_lo
	global_store_dword v[0:1], v3, off
.LBB3_6:
	s_endpgm
	.section	.rodata,"a",@progbits
	.p2align	6, 0x0
	.amdhsa_kernel _ZN9rocsolver6v33100L10init_identIfPfEEviiT0_iil
		.amdhsa_group_segment_fixed_size 0
		.amdhsa_private_segment_fixed_size 0
		.amdhsa_kernarg_size 288
		.amdhsa_user_sgpr_count 6
		.amdhsa_user_sgpr_private_segment_buffer 1
		.amdhsa_user_sgpr_dispatch_ptr 0
		.amdhsa_user_sgpr_queue_ptr 0
		.amdhsa_user_sgpr_kernarg_segment_ptr 1
		.amdhsa_user_sgpr_dispatch_id 0
		.amdhsa_user_sgpr_flat_scratch_init 0
		.amdhsa_user_sgpr_private_segment_size 0
		.amdhsa_wavefront_size32 1
		.amdhsa_uses_dynamic_stack 0
		.amdhsa_system_sgpr_private_segment_wavefront_offset 0
		.amdhsa_system_sgpr_workgroup_id_x 1
		.amdhsa_system_sgpr_workgroup_id_y 1
		.amdhsa_system_sgpr_workgroup_id_z 1
		.amdhsa_system_sgpr_workgroup_info 0
		.amdhsa_system_vgpr_workitem_id 1
		.amdhsa_next_free_vgpr 5
		.amdhsa_next_free_sgpr 9
		.amdhsa_reserve_vcc 1
		.amdhsa_reserve_flat_scratch 0
		.amdhsa_float_round_mode_32 0
		.amdhsa_float_round_mode_16_64 0
		.amdhsa_float_denorm_mode_32 3
		.amdhsa_float_denorm_mode_16_64 3
		.amdhsa_dx10_clamp 1
		.amdhsa_ieee_mode 1
		.amdhsa_fp16_overflow 0
		.amdhsa_workgroup_processor_mode 1
		.amdhsa_memory_ordered 1
		.amdhsa_forward_progress 1
		.amdhsa_shared_vgpr_count 0
		.amdhsa_exception_fp_ieee_invalid_op 0
		.amdhsa_exception_fp_denorm_src 0
		.amdhsa_exception_fp_ieee_div_zero 0
		.amdhsa_exception_fp_ieee_overflow 0
		.amdhsa_exception_fp_ieee_underflow 0
		.amdhsa_exception_fp_ieee_inexact 0
		.amdhsa_exception_int_div_zero 0
	.end_amdhsa_kernel
	.section	.text._ZN9rocsolver6v33100L10init_identIfPfEEviiT0_iil,"axG",@progbits,_ZN9rocsolver6v33100L10init_identIfPfEEviiT0_iil,comdat
.Lfunc_end3:
	.size	_ZN9rocsolver6v33100L10init_identIfPfEEviiT0_iil, .Lfunc_end3-_ZN9rocsolver6v33100L10init_identIfPfEEviiT0_iil
                                        ; -- End function
	.set _ZN9rocsolver6v33100L10init_identIfPfEEviiT0_iil.num_vgpr, 5
	.set _ZN9rocsolver6v33100L10init_identIfPfEEviiT0_iil.num_agpr, 0
	.set _ZN9rocsolver6v33100L10init_identIfPfEEviiT0_iil.numbered_sgpr, 9
	.set _ZN9rocsolver6v33100L10init_identIfPfEEviiT0_iil.num_named_barrier, 0
	.set _ZN9rocsolver6v33100L10init_identIfPfEEviiT0_iil.private_seg_size, 0
	.set _ZN9rocsolver6v33100L10init_identIfPfEEviiT0_iil.uses_vcc, 1
	.set _ZN9rocsolver6v33100L10init_identIfPfEEviiT0_iil.uses_flat_scratch, 0
	.set _ZN9rocsolver6v33100L10init_identIfPfEEviiT0_iil.has_dyn_sized_stack, 0
	.set _ZN9rocsolver6v33100L10init_identIfPfEEviiT0_iil.has_recursion, 0
	.set _ZN9rocsolver6v33100L10init_identIfPfEEviiT0_iil.has_indirect_call, 0
	.section	.AMDGPU.csdata,"",@progbits
; Kernel info:
; codeLenInByte = 264
; TotalNumSgprs: 11
; NumVgprs: 5
; ScratchSize: 0
; MemoryBound: 0
; FloatMode: 240
; IeeeMode: 1
; LDSByteSize: 0 bytes/workgroup (compile time only)
; SGPRBlocks: 0
; VGPRBlocks: 0
; NumSGPRsForWavesPerEU: 11
; NumVGPRsForWavesPerEU: 5
; Occupancy: 16
; WaveLimiterHint : 0
; COMPUTE_PGM_RSRC2:SCRATCH_EN: 0
; COMPUTE_PGM_RSRC2:USER_SGPR: 6
; COMPUTE_PGM_RSRC2:TRAP_HANDLER: 0
; COMPUTE_PGM_RSRC2:TGID_X_EN: 1
; COMPUTE_PGM_RSRC2:TGID_Y_EN: 1
; COMPUTE_PGM_RSRC2:TGID_Z_EN: 1
; COMPUTE_PGM_RSRC2:TIDIG_COMP_CNT: 1
	.section	.text._ZN9rocsolver6v33100L19stedcx_split_kernelIfEEv15rocblas_erange_iT_S3_iiPS3_lS4_lS4_lPiS4_S3_S3_,"axG",@progbits,_ZN9rocsolver6v33100L19stedcx_split_kernelIfEEv15rocblas_erange_iT_S3_iiPS3_lS4_lS4_lPiS4_S3_S3_,comdat
	.globl	_ZN9rocsolver6v33100L19stedcx_split_kernelIfEEv15rocblas_erange_iT_S3_iiPS3_lS4_lS4_lPiS4_S3_S3_ ; -- Begin function _ZN9rocsolver6v33100L19stedcx_split_kernelIfEEv15rocblas_erange_iT_S3_iiPS3_lS4_lS4_lPiS4_S3_S3_
	.p2align	8
	.type	_ZN9rocsolver6v33100L19stedcx_split_kernelIfEEv15rocblas_erange_iT_S3_iiPS3_lS4_lS4_lPiS4_S3_S3_,@function
_ZN9rocsolver6v33100L19stedcx_split_kernelIfEEv15rocblas_erange_iT_S3_iiPS3_lS4_lS4_lPiS4_S3_S3_: ; @_ZN9rocsolver6v33100L19stedcx_split_kernelIfEEv15rocblas_erange_iT_S3_iiPS3_lS4_lS4_lPiS4_S3_S3_
; %bb.0:
	s_clause 0x2
	s_load_dwordx16 s[8:23], s[4:5], 0x18
	s_load_dwordx4 s[24:27], s[4:5], 0x0
	s_load_dwordx2 s[28:29], s[4:5], 0x10
	s_ashr_i32 s49, s7, 31
	v_lshlrev_b32_e32 v14, 2, v0
	s_waitcnt lgkmcnt(0)
	s_mul_hi_u32 s0, s10, s7
	s_mul_i32 s1, s10, s49
	s_mul_i32 s2, s11, s7
	s_add_i32 s0, s0, s1
	s_ashr_i32 s11, s25, 31
	s_lshl_b32 s6, s25, 2
	s_add_i32 s43, s0, s2
	v_cmp_gt_i32_e32 vcc_lo, s25, v0
	s_cmpk_eq_i32 s24, 0xe9
	s_mul_i32 s42, s10, s7
	s_cselect_b32 s48, -1, 0
	s_mov_b32 s10, s25
	s_and_b32 s0, s48, vcc_lo
	s_and_saveexec_b32 s1, s0
	s_cbranch_execz .LBB4_3
; %bb.1:
	s_load_dword s0, s[4:5], 0x6c
	s_add_i32 s2, s6, 2
	s_lshl_b64 s[34:35], s[10:11], 2
	s_mul_i32 s2, s7, s2
	v_mov_b32_e32 v5, v0
	s_ashr_i32 s3, s2, 31
	s_lshl_b64 s[2:3], s[2:3], 2
	s_waitcnt lgkmcnt(0)
	s_and_b32 s30, s0, 0xffff
	s_add_u32 s0, s34, s2
	s_addc_u32 s2, s35, s3
	s_add_u32 s0, s22, s0
	s_addc_u32 s33, s23, s2
	v_add_co_u32 v3, s0, s0, v14
	s_lshl_b64 s[2:3], s[42:43], 2
	s_lshl_b32 s31, s30, 2
	v_add_co_ci_u32_e64 v4, null, s33, 0, s0
	s_add_u32 s0, s8, s2
	s_addc_u32 s2, s9, s3
	v_add_co_u32 v1, s0, s0, v14
	v_add_co_u32 v3, vcc_lo, v3, 8
	v_add_co_ci_u32_e64 v2, null, s2, 0, s0
	v_add_co_ci_u32_e64 v4, null, 0, v4, vcc_lo
	s_mov_b32 s33, 0
	s_mov_b64 s[2:3], 0
	.p2align	6
.LBB4_2:                                ; =>This Inner Loop Header: Depth=1
	v_add_co_u32 v6, vcc_lo, v1, s2
	v_add_co_ci_u32_e64 v7, null, s3, v2, vcc_lo
	v_add_nc_u32_e32 v5, s30, v5
	global_load_dword v8, v[6:7], off
	v_add_co_u32 v6, vcc_lo, v3, s2
	v_cmp_le_i32_e64 s0, s25, v5
	v_add_co_ci_u32_e64 v7, null, s3, v4, vcc_lo
	s_add_u32 s2, s2, s31
	s_addc_u32 s3, s3, 0
	s_or_b32 s33, s0, s33
	s_waitcnt vmcnt(0)
	global_store_dword v[6:7], v8, off
	s_andn2_b32 exec_lo, exec_lo, s33
	s_cbranch_execnz .LBB4_2
.LBB4_3:
	s_or_b32 exec_lo, exec_lo, s1
	s_add_i32 s33, s25, -1
	v_mov_b32_e32 v1, 0
	s_ashr_i32 s0, s33, 31
	v_add_nc_u32_e32 v15, -1, v0
	s_lshr_b32 s0, s0, 24
	s_add_i32 s0, s33, s0
	s_and_b32 s1, s0, 0xffffff00
	s_ashr_i32 s0, s0, 8
	s_sub_i32 s1, s33, s1
	v_cmp_gt_i32_e32 vcc_lo, s1, v0
	v_add_co_ci_u32_e64 v16, null, s0, 0, vcc_lo
	v_cmp_eq_u32_e64 s0, 0, v0
	v_cmp_ne_u32_e32 vcc_lo, 0, v0
	ds_write_b32 v14, v16
	s_waitcnt lgkmcnt(0)
	s_waitcnt_vscnt null, 0x0
	s_barrier
	buffer_gl0_inv
	s_and_saveexec_b32 s2, vcc_lo
	s_cbranch_execz .LBB4_13
; %bb.4:
	v_mov_b32_e32 v1, 0
	v_mov_b32_e32 v2, 0
	s_mov_b32 s3, exec_lo
	v_cmpx_lt_u32_e32 6, v15
	s_cbranch_execz .LBB4_8
; %bb.5:
	v_and_b32_e32 v2, 0xf8, v0
	v_mov_b32_e32 v1, 0
	s_mov_b32 s30, 0
	s_mov_b32 s31, 0
	s_mov_b32 s34, 0
	.p2align	6
.LBB4_6:                                ; =>This Inner Loop Header: Depth=1
	v_mov_b32_e32 v7, s31
	s_add_i32 s34, s34, 8
	s_add_i32 s31, s31, 32
	v_cmp_eq_u32_e64 s1, s34, v2
	ds_read_b128 v[3:6], v7
	ds_read_b128 v[7:10], v7 offset:16
	s_or_b32 s30, s1, s30
	s_waitcnt lgkmcnt(1)
	v_add_nc_u32_e32 v1, v3, v1
	v_add_nc_u32_e32 v1, v4, v1
	;; [unrolled: 1-line block ×4, first 2 shown]
	s_waitcnt lgkmcnt(0)
	v_add_nc_u32_e32 v1, v7, v1
	v_add_nc_u32_e32 v1, v8, v1
	v_add_nc_u32_e32 v1, v9, v1
	v_add_nc_u32_e32 v1, v10, v1
	s_andn2_b32 exec_lo, exec_lo, s30
	s_cbranch_execnz .LBB4_6
; %bb.7:
	s_or_b32 exec_lo, exec_lo, s30
.LBB4_8:
	s_or_b32 exec_lo, exec_lo, s3
	v_and_b32_e32 v3, 7, v0
	s_mov_b32 s30, 0
	s_mov_b32 s3, exec_lo
	v_cmpx_ne_u32_e32 0, v3
	s_cbranch_execz .LBB4_12
; %bb.9:
	v_lshlrev_b32_e32 v2, 2, v2
.LBB4_10:                               ; =>This Inner Loop Header: Depth=1
	ds_read_b32 v4, v2
	v_add_nc_u32_e32 v3, -1, v3
	v_add_nc_u32_e32 v2, 4, v2
	v_cmp_eq_u32_e64 s1, 0, v3
	s_or_b32 s30, s1, s30
	s_waitcnt lgkmcnt(0)
	v_add_nc_u32_e32 v1, v4, v1
	s_andn2_b32 exec_lo, exec_lo, s30
	s_cbranch_execnz .LBB4_10
; %bb.11:
	s_or_b32 exec_lo, exec_lo, s30
.LBB4_12:
	s_or_b32 exec_lo, exec_lo, s3
.LBB4_13:
	s_or_b32 exec_lo, exec_lo, s2
	s_mul_i32 s1, s25, 5
	s_load_dwordx2 s[36:37], s[4:5], 0x58
	s_add_i32 s1, s1, 2
	s_mul_i32 s30, s18, s49
	s_mul_i32 s2, s1, s7
	s_mul_hi_u32 s31, s18, s7
	s_ashr_i32 s3, s2, 31
	s_mul_i32 s1, s19, s7
	s_add_i32 s19, s31, s30
	s_lshl_b64 s[30:31], s[2:3], 2
	s_add_i32 s45, s19, s1
	s_add_u32 s46, s20, s30
	s_addc_u32 s47, s21, s31
	s_lshl_b64 s[4:5], s[10:11], 2
	v_ashrrev_i32_e32 v2, 31, v1
	s_add_u32 s38, s46, s4
	s_addc_u32 s39, s47, s5
	s_lshl_b32 s34, s25, 1
	v_mov_b32_e32 v4, 0
	s_ashr_i32 s35, s34, 31
	v_lshlrev_b64 v[2:3], 2, v[1:2]
	s_lshl_b64 s[40:41], s[34:35], 2
	s_mul_i32 s44, s18, s7
	s_add_u32 s18, s38, s40
	s_addc_u32 s19, s39, s41
	s_mov_b32 s3, exec_lo
	v_cmpx_lt_i32_e32 0, v16
	s_cbranch_execz .LBB4_19
; %bb.14:
	s_add_i32 s1, s6, 2
	s_mul_hi_u32 s2, s14, s7
	s_mul_i32 s50, s7, s1
	s_mul_i32 s1, s14, s49
	s_ashr_i32 s51, s50, 31
	s_mul_i32 s15, s15, s7
	s_lshl_b64 s[50:51], s[50:51], 2
	s_mul_i32 s14, s14, s7
	s_add_u32 s35, s22, s50
	s_addc_u32 s49, s23, s51
	s_add_i32 s2, s2, s1
	v_add_co_u32 v17, s1, s18, v2
	v_add_co_ci_u32_e64 v18, null, s19, v3, s1
	v_add_co_u32 v4, s1, s35, v2
	v_add_co_ci_u32_e64 v5, null, s49, v3, s1
	s_add_i32 s15, s2, s15
	v_add_co_u32 v6, s1, v4, 12
	s_lshl_b64 s[14:15], s[14:15], 2
	v_add_co_ci_u32_e64 v7, null, 0, v5, s1
	s_add_u32 s1, s12, s14
	s_addc_u32 s2, s13, s15
	s_lshl_b64 s[12:13], s[42:43], 2
	v_add_co_u32 v8, s1, s1, v2
	v_add_co_ci_u32_e64 v9, null, s2, v3, s1
	s_add_u32 s1, s8, s12
	s_addc_u32 s2, s9, s13
	s_lshl_b64 s[12:13], s[44:45], 2
	v_add_co_u32 v10, s1, s1, v2
	v_add_co_ci_u32_e64 v11, null, s2, v3, s1
	s_add_u32 s1, s16, s12
	s_addc_u32 s2, s17, s13
	v_add_co_u32 v12, s1, s1, v2
	v_add_co_ci_u32_e64 v13, null, s2, v3, s1
	v_mov_b32_e32 v4, 0
	s_mov_b32 s12, 0
	s_branch .LBB4_16
.LBB4_15:                               ;   in Loop: Header=BB4_16 Depth=1
	s_or_b32 exec_lo, exec_lo, s2
	global_store_dword v[6:7], v5, off
	global_store_dword v[12:13], v19, off
	v_add_co_u32 v6, s1, v6, 4
	v_add_nc_u32_e32 v16, -1, v16
	v_add_co_ci_u32_e64 v7, null, 0, v7, s1
	v_add_co_u32 v8, s1, v8, 4
	v_add_co_ci_u32_e64 v9, null, 0, v9, s1
	v_add_co_u32 v10, s1, v10, 4
	v_add_co_ci_u32_e64 v11, null, 0, v11, s1
	v_cmp_eq_u32_e64 s1, 0, v16
	v_add_co_u32 v12, s2, v12, 4
	v_add_nc_u32_e32 v1, 1, v1
	v_add_co_ci_u32_e64 v13, null, 0, v13, s2
	s_or_b32 s12, s1, s12
	s_andn2_b32 exec_lo, exec_lo, s12
	s_cbranch_execz .LBB4_18
.LBB4_16:                               ; =>This Inner Loop Header: Depth=1
	global_load_dwordx2 v[20:21], v[10:11], off
	global_load_dword v19, v[8:9], off
	s_mov_b32 s2, exec_lo
	s_waitcnt vmcnt(1)
	v_mul_f32_e32 v5, v20, v21
	s_waitcnt lgkmcnt(0)
	v_mul_f32_e64 v20, s36, |v5|
	s_waitcnt vmcnt(0)
	v_mul_f32_e32 v5, v19, v19
	v_fma_f32 v20, s36, v20, s37
	v_cmpx_gt_f32_e32 v20, v5
	s_cbranch_execz .LBB4_15
; %bb.17:                               ;   in Loop: Header=BB4_16 Depth=1
	v_ashrrev_i32_e32 v5, 31, v4
	v_lshlrev_b64 v[19:20], 2, v[4:5]
	v_add_nc_u32_e32 v4, 1, v4
	v_mov_b32_e32 v5, 0
	v_add_co_u32 v21, s1, v17, v19
	v_add_co_ci_u32_e64 v22, null, v18, v20, s1
	v_mov_b32_e32 v19, 0
	global_store_dword v[21:22], v1, off offset:8
	s_branch .LBB4_15
.LBB4_18:
	s_or_b32 exec_lo, exec_lo, s12
.LBB4_19:
	s_or_b32 exec_lo, exec_lo, s3
	v_mov_b32_e32 v5, 1
	ds_write_b32 v14, v4
	s_waitcnt lgkmcnt(0)
	s_waitcnt_vscnt null, 0x0
	s_barrier
	buffer_gl0_inv
	s_and_saveexec_b32 s1, vcc_lo
	s_cbranch_execz .LBB4_29
; %bb.20:
	v_mov_b32_e32 v1, 0
	v_mov_b32_e32 v5, 1
	s_mov_b32 s2, exec_lo
	v_cmpx_lt_u32_e32 6, v15
	s_cbranch_execz .LBB4_24
; %bb.21:
	v_and_b32_e32 v1, 0xf8, v0
	v_mov_b32_e32 v5, 1
	s_mov_b32 s3, 0
	s_mov_b32 s12, 0
	;; [unrolled: 1-line block ×3, first 2 shown]
	.p2align	6
.LBB4_22:                               ; =>This Inner Loop Header: Depth=1
	v_mov_b32_e32 v10, s12
	s_add_i32 s13, s13, 8
	s_add_i32 s12, s12, 32
	v_cmp_eq_u32_e32 vcc_lo, s13, v1
	ds_read_b128 v[6:9], v10
	ds_read_b128 v[10:13], v10 offset:16
	s_or_b32 s3, vcc_lo, s3
	s_waitcnt lgkmcnt(1)
	v_add_nc_u32_e32 v5, v6, v5
	v_add_nc_u32_e32 v5, v7, v5
	;; [unrolled: 1-line block ×4, first 2 shown]
	s_waitcnt lgkmcnt(0)
	v_add_nc_u32_e32 v5, v10, v5
	v_add_nc_u32_e32 v5, v11, v5
	;; [unrolled: 1-line block ×4, first 2 shown]
	s_andn2_b32 exec_lo, exec_lo, s3
	s_cbranch_execnz .LBB4_22
; %bb.23:
	s_or_b32 exec_lo, exec_lo, s3
.LBB4_24:
	s_or_b32 exec_lo, exec_lo, s2
	v_and_b32_e32 v6, 7, v0
	s_mov_b32 s3, 0
	s_mov_b32 s2, exec_lo
	v_cmpx_ne_u32_e32 0, v6
	s_cbranch_execz .LBB4_28
; %bb.25:
	v_lshlrev_b32_e32 v1, 2, v1
.LBB4_26:                               ; =>This Inner Loop Header: Depth=1
	ds_read_b32 v7, v1
	v_add_nc_u32_e32 v6, -1, v6
	v_add_nc_u32_e32 v1, 4, v1
	v_cmp_eq_u32_e32 vcc_lo, 0, v6
	s_or_b32 s3, vcc_lo, s3
	s_waitcnt lgkmcnt(0)
	v_add_nc_u32_e32 v5, v7, v5
	s_andn2_b32 exec_lo, exec_lo, s3
	s_cbranch_execnz .LBB4_26
; %bb.27:
	s_or_b32 exec_lo, exec_lo, s3
.LBB4_28:
	s_or_b32 exec_lo, exec_lo, s2
.LBB4_29:
	s_or_b32 exec_lo, exec_lo, s1
	s_mov_b32 s3, 0
	s_mov_b32 s2, exec_lo
	v_cmpx_lt_i32_e32 0, v4
	s_cbranch_execz .LBB4_32
; %bb.30:
	v_ashrrev_i32_e32 v6, 31, v5
	s_add_u32 s1, s20, s30
	s_addc_u32 s12, s21, s31
	s_add_u32 s13, s20, s40
	s_addc_u32 s14, s21, s41
	s_add_u32 s13, s13, s30
	v_lshlrev_b64 v[6:7], 2, v[5:6]
	s_addc_u32 s14, s14, s31
	s_add_u32 s13, s13, s4
	s_addc_u32 s14, s14, s5
	v_add_co_u32 v8, vcc_lo, s13, v2
	v_add_co_ci_u32_e64 v3, null, s14, v3, vcc_lo
	v_add_co_u32 v1, vcc_lo, s1, v6
	v_add_co_ci_u32_e64 v2, null, s12, v7, vcc_lo
	;; [unrolled: 2-line block ×3, first 2 shown]
	v_mov_b32_e32 v3, v4
	.p2align	6
.LBB4_31:                               ; =>This Inner Loop Header: Depth=1
	global_load_dword v8, v[6:7], off
	v_add_nc_u32_e32 v3, -1, v3
	v_add_co_u32 v6, vcc_lo, v6, 4
	v_add_co_ci_u32_e64 v7, null, 0, v7, vcc_lo
	v_cmp_eq_u32_e32 vcc_lo, 0, v3
	s_or_b32 s3, vcc_lo, s3
	s_waitcnt vmcnt(0)
	v_add_nc_u32_e32 v8, 1, v8
	global_store_dword v[1:2], v8, off
	v_add_co_u32 v1, s1, v1, 4
	v_add_co_ci_u32_e64 v2, null, 0, v2, s1
	s_andn2_b32 exec_lo, exec_lo, s3
	s_cbranch_execnz .LBB4_31
.LBB4_32:
	s_or_b32 exec_lo, exec_lo, s2
	v_cmp_eq_u32_e64 s1, 0xff, v0
	s_and_saveexec_b32 s2, s1
	s_cbranch_execz .LBB4_34
; %bb.33:
	v_add_nc_u32_e32 v1, v5, v4
	v_mov_b32_e32 v4, s25
	v_mov_b32_e32 v5, 0
	v_ashrrev_i32_e32 v2, 31, v1
	v_lshlrev_b64 v[2:3], 2, v[1:2]
	v_add_co_u32 v2, vcc_lo, s46, v2
	v_add_co_ci_u32_e64 v3, null, s47, v3, vcc_lo
	global_store_dword v[2:3], v4, off
	global_store_dword v5, v5, s[46:47]
	global_store_dword v5, v1, s[38:39] offset:4
.LBB4_34:
	s_or_b32 exec_lo, exec_lo, s2
	v_mov_b32_e32 v3, 0
	v_bfrev_b32_e32 v4, -2
	s_mov_b32 s3, exec_lo
	s_waitcnt_vscnt null, 0x0
	s_barrier
	buffer_gl0_inv
	v_cmpx_gt_i32_e64 s33, v0
	s_cbranch_execz .LBB4_38
; %bb.35:
	s_add_i32 s2, s6, 2
	v_mov_b32_e32 v3, 0
	s_mul_i32 s12, s7, s2
	v_bfrev_b32_e32 v4, -2
	s_ashr_i32 s13, s12, 31
	v_mov_b32_e32 v5, v0
	s_lshl_b64 s[12:13], s[12:13], 2
	s_add_u32 s2, s22, s12
	s_addc_u32 s12, s23, s13
	v_add_co_u32 v1, s2, s2, v14
	v_add_co_ci_u32_e64 v2, null, s12, 0, s2
	s_mov_b32 s12, 0
	v_add_co_u32 v1, vcc_lo, v1, 12
	v_add_co_ci_u32_e64 v2, null, 0, v2, vcc_lo
	.p2align	6
.LBB4_36:                               ; =>This Inner Loop Header: Depth=1
	global_load_dword v6, v[1:2], off
	v_cmp_eq_u32_e32 vcc_lo, 0x7fffffff, v4
	v_add_nc_u32_e32 v7, 1, v5
	v_add_nc_u32_e32 v5, 0x100, v5
	v_add_co_u32 v1, s2, 0x400, v1
	v_add_co_ci_u32_e64 v2, null, 0, v2, s2
	v_cmp_le_i32_e64 s2, s33, v5
	s_waitcnt vmcnt(0)
	v_cmp_lt_f32_e64 s13, v3, |v6|
	s_or_b32 vcc_lo, s13, vcc_lo
	s_or_b32 s12, s2, s12
	v_cndmask_b32_e64 v3, v3, |v6|, vcc_lo
	v_cndmask_b32_e32 v4, v4, v7, vcc_lo
	s_andn2_b32 exec_lo, exec_lo, s12
	s_cbranch_execnz .LBB4_36
; %bb.37:
	s_or_b32 exec_lo, exec_lo, s12
.LBB4_38:
	s_or_b32 exec_lo, exec_lo, s3
	s_cmp_lt_i32 s25, 3
	ds_write_b32 v14, v3 offset:1024
	ds_write_b32 v14, v4
	s_waitcnt lgkmcnt(0)
	s_barrier
	buffer_gl0_inv
	s_cbranch_scc1 .LBB4_75
; %bb.39:
	v_or_b32_e32 v1, 0x400, v14
	s_mov_b32 s3, exec_lo
	v_cmpx_gt_u32_e32 0x80, v0
	s_cbranch_execz .LBB4_45
; %bb.40:
	ds_read_b32 v2, v1 offset:512
	ds_read_b32 v5, v14 offset:512
	s_mov_b32 s13, exec_lo
	s_waitcnt lgkmcnt(1)
	v_cmp_lt_f32_e64 s12, v3, v2
	v_cmpx_nlt_f32_e32 v3, v2
	s_cbranch_execz .LBB4_42
; %bb.41:
	v_cmp_eq_f32_e32 vcc_lo, v3, v2
	s_waitcnt lgkmcnt(0)
	v_cmp_gt_i32_e64 s2, v4, v5
	s_andn2_b32 s12, s12, exec_lo
	s_and_b32 s2, vcc_lo, s2
	s_and_b32 s2, s2, exec_lo
	s_or_b32 s12, s12, s2
.LBB4_42:
	s_or_b32 exec_lo, exec_lo, s13
	s_and_saveexec_b32 s2, s12
	s_cbranch_execz .LBB4_44
; %bb.43:
	s_waitcnt lgkmcnt(0)
	v_mov_b32_e32 v4, v5
	v_mov_b32_e32 v3, v2
	ds_write_b32 v1, v2
	ds_write_b32 v14, v5
.LBB4_44:
	s_or_b32 exec_lo, exec_lo, s2
.LBB4_45:
	s_or_b32 exec_lo, exec_lo, s3
	s_mov_b32 s3, exec_lo
	s_waitcnt lgkmcnt(0)
	s_barrier
	buffer_gl0_inv
	v_cmpx_gt_u32_e32 64, v0
	s_cbranch_execz .LBB4_51
; %bb.46:
	ds_read_b32 v2, v1 offset:256
	ds_read_b32 v5, v14 offset:256
	s_mov_b32 s13, exec_lo
	s_waitcnt lgkmcnt(1)
	v_cmp_lt_f32_e64 s12, v3, v2
	v_cmpx_nlt_f32_e32 v3, v2
	s_cbranch_execz .LBB4_48
; %bb.47:
	v_cmp_eq_f32_e32 vcc_lo, v3, v2
	s_waitcnt lgkmcnt(0)
	v_cmp_gt_i32_e64 s2, v4, v5
	s_andn2_b32 s12, s12, exec_lo
	s_and_b32 s2, vcc_lo, s2
	s_and_b32 s2, s2, exec_lo
	s_or_b32 s12, s12, s2
.LBB4_48:
	s_or_b32 exec_lo, exec_lo, s13
	s_and_saveexec_b32 s2, s12
	s_cbranch_execz .LBB4_50
; %bb.49:
	s_waitcnt lgkmcnt(0)
	v_mov_b32_e32 v4, v5
	v_mov_b32_e32 v3, v2
	ds_write_b32 v1, v2
	ds_write_b32 v14, v5
.LBB4_50:
	s_or_b32 exec_lo, exec_lo, s2
.LBB4_51:
	s_or_b32 exec_lo, exec_lo, s3
	s_mov_b32 s12, exec_lo
	s_waitcnt lgkmcnt(0)
	s_barrier
	buffer_gl0_inv
	v_cmpx_gt_u32_e32 32, v0
	s_cbranch_execz .LBB4_74
; %bb.52:
	ds_read_b32 v2, v1 offset:128
	ds_read_b32 v5, v14 offset:128
	s_mov_b32 s13, exec_lo
	s_waitcnt lgkmcnt(1)
	v_cmp_lt_f32_e64 s3, v3, v2
	v_cmpx_nlt_f32_e32 v3, v2
	s_cbranch_execz .LBB4_54
; %bb.53:
	v_cmp_eq_f32_e32 vcc_lo, v3, v2
	s_waitcnt lgkmcnt(0)
	v_cmp_gt_i32_e64 s2, v4, v5
	s_andn2_b32 s3, s3, exec_lo
	s_and_b32 s2, vcc_lo, s2
	s_and_b32 s2, s2, exec_lo
	s_or_b32 s3, s3, s2
.LBB4_54:
	s_or_b32 exec_lo, exec_lo, s13
	s_and_saveexec_b32 s2, s3
	s_cbranch_execz .LBB4_56
; %bb.55:
	v_mov_b32_e32 v3, v2
	s_waitcnt lgkmcnt(0)
	v_mov_b32_e32 v4, v5
	ds_write_b32 v1, v2
	ds_write_b32 v14, v5
.LBB4_56:
	s_or_b32 exec_lo, exec_lo, s2
	ds_read_b32 v2, v1 offset:64
	s_waitcnt lgkmcnt(1)
	ds_read_b32 v5, v14 offset:64
	s_mov_b32 s13, exec_lo
	s_waitcnt lgkmcnt(1)
	v_cmp_lt_f32_e64 s3, v3, v2
	v_cmpx_nlt_f32_e32 v3, v2
	s_cbranch_execz .LBB4_58
; %bb.57:
	v_cmp_eq_f32_e32 vcc_lo, v3, v2
	s_waitcnt lgkmcnt(0)
	v_cmp_gt_i32_e64 s2, v4, v5
	s_andn2_b32 s3, s3, exec_lo
	s_and_b32 s2, vcc_lo, s2
	s_and_b32 s2, s2, exec_lo
	s_or_b32 s3, s3, s2
.LBB4_58:
	s_or_b32 exec_lo, exec_lo, s13
	s_and_saveexec_b32 s2, s3
	s_cbranch_execz .LBB4_60
; %bb.59:
	v_mov_b32_e32 v3, v2
	s_waitcnt lgkmcnt(0)
	v_mov_b32_e32 v4, v5
	ds_write_b32 v1, v2
	ds_write_b32 v14, v5
.LBB4_60:
	s_or_b32 exec_lo, exec_lo, s2
	ds_read_b32 v2, v1 offset:32
	s_waitcnt lgkmcnt(1)
	;; [unrolled: 28-line block ×5, first 2 shown]
	ds_read_b32 v5, v14 offset:4
	s_waitcnt lgkmcnt(1)
	v_cmp_eq_f32_e32 vcc_lo, v3, v2
	s_waitcnt lgkmcnt(0)
	v_cmp_gt_i32_e64 s2, v4, v5
	v_cmp_lt_f32_e64 s3, v3, v2
	s_and_b32 s2, vcc_lo, s2
	s_or_b32 s2, s3, s2
	s_and_b32 exec_lo, exec_lo, s2
	s_cbranch_execz .LBB4_74
; %bb.73:
	ds_write_b32 v1, v2
	ds_write_b32 v14, v5
.LBB4_74:
	s_or_b32 exec_lo, exec_lo, s12
.LBB4_75:
	v_mov_b32_e32 v1, 0
	s_waitcnt lgkmcnt(0)
	s_barrier
	buffer_gl0_inv
	s_or_b32 s2, s6, 2
	ds_read_b32 v1, v1 offset:1024
	s_mul_i32 s2, s2, s7
	v_mov_b32_e32 v3, s26
	s_ashr_i32 s3, s2, 31
	s_lshl_b64 s[2:3], s[2:3], 2
	s_add_u32 s12, s22, s2
	s_addc_u32 s13, s23, s3
	s_mov_b32 s2, -1
	s_waitcnt lgkmcnt(0)
	v_mul_f32_e32 v2, s37, v1
	v_mov_b32_e32 v1, s27
	v_cmp_gt_f32_e32 vcc_lo, s37, v2
	v_cndmask_b32_e64 v2, v2, s37, vcc_lo
	s_andn2_b32 vcc_lo, exec_lo, s48
	s_cbranch_vccnz .LBB4_123
; %bb.76:
	s_add_u32 s2, s12, s4
	s_addc_u32 s3, s13, s5
	s_add_u32 s14, s2, s4
	s_addc_u32 s15, s3, s5
	s_lshl_b64 s[2:3], s[44:45], 2
	s_add_u32 s44, s16, s2
	s_addc_u32 s45, s17, s3
	s_lshl_b64 s[16:17], s[42:43], 2
	s_add_u32 s26, s8, s16
	s_addc_u32 s27, s9, s17
	s_and_saveexec_b32 s35, s0
	s_cbranch_execz .LBB4_84
; %bb.77:
	v_mov_b32_e32 v6, 0
	s_cmp_gt_i32 s25, 1
	s_clause 0x1
	global_load_dword v1, v6, s[26:27]
	global_load_dword v4, v6, s[44:45]
	s_cselect_b32 s37, -1, 0
	s_cmp_lt_i32 s25, 2
	s_waitcnt vmcnt(0)
	v_sub_f32_e64 v3, v1, |v4|
	v_sub_f32_e32 v7, v1, v3
	v_cmp_le_f32_e32 vcc_lo, v7, v2
	v_cndmask_b32_e64 v5, 0, 1, vcc_lo
	s_cbranch_scc1 .LBB4_80
; %bb.78:
	s_add_i32 s2, s6, 2
	v_cmp_gt_f32_e64 s42, v7, -v2
	s_mul_i32 s2, s7, s2
	s_mov_b32 s46, s33
	s_ashr_i32 s3, s2, 31
	s_and_b32 s42, vcc_lo, s42
	s_lshl_b64 s[2:3], s[2:3], 2
	v_cndmask_b32_e64 v7, v7, -v2, s42
	s_add_u32 s2, s22, s2
	s_addc_u32 s3, s23, s3
	s_add_u32 s2, s2, 12
	s_addc_u32 s3, s3, 0
	s_add_u32 s42, s8, s16
	s_addc_u32 s43, s9, s17
	s_add_u32 s42, s42, 4
	s_addc_u32 s43, s43, 0
	s_inst_prefetch 0x1
	.p2align	6
.LBB4_79:                               ; =>This Inner Loop Header: Depth=1
	s_clause 0x1
	global_load_dword v8, v6, s[2:3]
	global_load_dword v9, v6, s[42:43]
	s_add_i32 s46, s46, -1
	s_waitcnt vmcnt(1)
	v_div_scale_f32 v10, null, v7, v7, v8
	v_div_scale_f32 v13, vcc_lo, v8, v7, v8
	s_waitcnt vmcnt(0)
	v_sub_f32_e32 v9, v9, v3
	v_rcp_f32_e32 v11, v10
	v_fma_f32 v12, -v10, v11, 1.0
	v_fmac_f32_e32 v11, v12, v11
	v_mul_f32_e32 v12, v13, v11
	v_fma_f32 v14, -v10, v12, v13
	v_fmac_f32_e32 v12, v14, v11
	v_fma_f32 v10, -v10, v12, v13
	v_div_fmas_f32 v10, v10, v11, v12
	v_div_fixup_f32 v7, v10, v7, v8
	v_sub_f32_e32 v7, v9, v7
	v_cmp_le_f32_e32 vcc_lo, v7, v2
	v_cmp_gt_f32_e64 s47, v7, -v2
	v_add_co_ci_u32_e64 v5, null, 0, v5, vcc_lo
	s_and_b32 s47, vcc_lo, s47
	s_add_u32 s2, s2, 4
	v_cndmask_b32_e64 v7, v7, -v2, s47
	s_addc_u32 s3, s3, 0
	s_add_u32 s42, s42, 4
	s_addc_u32 s43, s43, 0
	s_cmp_lg_u32 s46, 0
	s_cbranch_scc1 .LBB4_79
.LBB4_80:
	s_inst_prefetch 0x2
	v_and_b32_e32 v4, 0x7fffffff, v4
	s_andn2_b32 vcc_lo, exec_lo, s37
	v_add_f32_e32 v4, v1, v4
	v_sub_f32_e32 v7, v1, v4
	v_cmp_le_f32_e64 s2, v7, v2
	v_cndmask_b32_e64 v6, 0, 1, s2
	s_cbranch_vccnz .LBB4_83
; %bb.81:
	s_add_i32 s3, s6, 2
	v_cmp_gt_f32_e64 s37, v7, -v2
	s_mul_i32 s42, s7, s3
	v_mov_b32_e32 v1, 0
	s_ashr_i32 s43, s42, 31
	s_and_b32 s2, s2, s37
	s_lshl_b64 s[42:43], s[42:43], 2
	v_cndmask_b32_e64 v7, v7, -v2, s2
	s_add_u32 s2, s22, s42
	s_addc_u32 s3, s23, s43
	s_add_u32 s2, s2, 12
	s_addc_u32 s3, s3, 0
	;; [unrolled: 2-line block ×4, first 2 shown]
	s_mov_b32 s37, s33
	s_inst_prefetch 0x1
	.p2align	6
.LBB4_82:                               ; =>This Inner Loop Header: Depth=1
	s_clause 0x1
	global_load_dword v8, v1, s[2:3]
	global_load_dword v9, v1, s[42:43]
	s_add_i32 s37, s37, -1
	s_waitcnt vmcnt(1)
	v_div_scale_f32 v10, null, v7, v7, v8
	v_div_scale_f32 v13, vcc_lo, v8, v7, v8
	s_waitcnt vmcnt(0)
	v_sub_f32_e32 v9, v9, v4
	v_rcp_f32_e32 v11, v10
	v_fma_f32 v12, -v10, v11, 1.0
	v_fmac_f32_e32 v11, v12, v11
	v_mul_f32_e32 v12, v13, v11
	v_fma_f32 v14, -v10, v12, v13
	v_fmac_f32_e32 v12, v14, v11
	v_fma_f32 v10, -v10, v12, v13
	v_div_fmas_f32 v10, v10, v11, v12
	v_div_fixup_f32 v7, v10, v7, v8
	v_sub_f32_e32 v7, v9, v7
	v_cmp_le_f32_e32 vcc_lo, v7, v2
	v_cmp_gt_f32_e64 s46, v7, -v2
	v_add_co_ci_u32_e64 v6, null, 0, v6, vcc_lo
	s_and_b32 s46, vcc_lo, s46
	s_add_u32 s2, s2, 4
	v_cndmask_b32_e64 v7, v7, -v2, s46
	s_addc_u32 s3, s3, 0
	s_add_u32 s42, s42, 4
	s_addc_u32 s43, s43, 0
	s_cmp_lg_u32 s37, 0
	s_cbranch_scc1 .LBB4_82
.LBB4_83:
	s_inst_prefetch 0x2
	v_mov_b32_e32 v1, 0
	global_store_dwordx2 v1, v[3:4], s[14:15] offset:8
	global_store_dwordx2 v1, v[5:6], s[38:39] offset:8
.LBB4_84:
	s_or_b32 exec_lo, exec_lo, s35
	v_add_nc_u32_e32 v0, 1, v0
	s_mov_b32 s35, exec_lo
	v_cmpx_gt_i32_e64 s33, v0
	s_cbranch_execz .LBB4_91
; %bb.85:
	s_add_i32 s2, s6, 2
	v_mov_b32_e32 v1, 0
	s_mul_i32 s2, s7, s2
	s_mov_b32 s37, 0
	s_ashr_i32 s3, s2, 31
	s_lshl_b64 s[2:3], s[2:3], 2
	s_add_u32 s2, s22, s2
	s_addc_u32 s3, s23, s3
	s_add_u32 s42, s2, 12
	s_addc_u32 s43, s3, 0
	;; [unrolled: 2-line block ×4, first 2 shown]
.LBB4_86:                               ; =>This Loop Header: Depth=1
                                        ;     Child Loop BB4_87 Depth 2
                                        ;     Child Loop BB4_89 Depth 2
	v_lshlrev_b64 v[3:4], 2, v[0:1]
	s_mov_b32 s50, 1
	s_mov_b64 s[48:49], s[42:43]
	v_add_co_u32 v5, vcc_lo, s44, v3
	v_add_co_ci_u32_e64 v6, null, s45, v4, vcc_lo
	v_add_co_u32 v3, vcc_lo, s26, v3
	v_add_co_ci_u32_e64 v4, null, s27, v4, vcc_lo
	global_load_dwordx2 v[7:8], v[5:6], off offset:-4
	s_clause 0x1
	global_load_dword v4, v[3:4], off
	global_load_dword v6, v1, s[26:27]
	s_waitcnt vmcnt(2)
	v_add_f32_e64 v7, |v8|, |v7|
	s_waitcnt vmcnt(1)
	v_sub_f32_e32 v3, v4, v7
	s_waitcnt vmcnt(0)
	v_sub_f32_e32 v8, v6, v3
	v_cmp_gt_f32_e64 s2, v8, -v2
	v_cmp_le_f32_e32 vcc_lo, v8, v2
	s_and_b32 s2, vcc_lo, s2
	v_cndmask_b32_e64 v5, 0, 1, vcc_lo
	v_cndmask_b32_e64 v8, v8, -v2, s2
	s_mov_b64 s[2:3], s[46:47]
	s_inst_prefetch 0x1
	.p2align	6
.LBB4_87:                               ;   Parent Loop BB4_86 Depth=1
                                        ; =>  This Inner Loop Header: Depth=2
	s_clause 0x1
	global_load_dword v9, v1, s[48:49]
	global_load_dword v10, v1, s[2:3]
	s_add_i32 s50, s50, 1
	s_waitcnt vmcnt(1)
	v_div_scale_f32 v11, null, v8, v8, v9
	v_div_scale_f32 v14, vcc_lo, v9, v8, v9
	s_waitcnt vmcnt(0)
	v_sub_f32_e32 v10, v10, v3
	v_rcp_f32_e32 v12, v11
	v_fma_f32 v13, -v11, v12, 1.0
	v_fmac_f32_e32 v12, v13, v12
	v_mul_f32_e32 v13, v14, v12
	v_fma_f32 v15, -v11, v13, v14
	v_fmac_f32_e32 v13, v15, v12
	v_fma_f32 v11, -v11, v13, v14
	v_div_fmas_f32 v11, v11, v12, v13
	v_div_fixup_f32 v8, v11, v8, v9
	v_sub_f32_e32 v8, v10, v8
	v_cmp_le_f32_e32 vcc_lo, v8, v2
	v_cmp_gt_f32_e64 s51, v8, -v2
	v_add_co_ci_u32_e64 v5, null, 0, v5, vcc_lo
	s_and_b32 s51, vcc_lo, s51
	s_add_u32 s48, s48, 4
	v_cndmask_b32_e64 v8, v8, -v2, s51
	s_addc_u32 s49, s49, 0
	s_add_u32 s2, s2, 4
	s_addc_u32 s3, s3, 0
	s_cmp_lg_u32 s25, s50
	s_cbranch_scc1 .LBB4_87
; %bb.88:                               ;   in Loop: Header=BB4_86 Depth=1
	s_inst_prefetch 0x2
	v_add_f32_e32 v4, v4, v7
	s_mov_b64 s[48:49], s[42:43]
	s_mov_b32 s50, s33
	v_sub_f32_e32 v7, v6, v4
	v_cmp_gt_f32_e64 s2, v7, -v2
	v_cmp_le_f32_e32 vcc_lo, v7, v2
	s_and_b32 s2, vcc_lo, s2
	v_cndmask_b32_e64 v6, 0, 1, vcc_lo
	v_cndmask_b32_e64 v7, v7, -v2, s2
	s_mov_b64 s[2:3], s[46:47]
	s_inst_prefetch 0x1
	.p2align	6
.LBB4_89:                               ;   Parent Loop BB4_86 Depth=1
                                        ; =>  This Inner Loop Header: Depth=2
	s_clause 0x1
	global_load_dword v8, v1, s[48:49]
	global_load_dword v9, v1, s[2:3]
	s_add_i32 s50, s50, -1
	s_waitcnt vmcnt(1)
	v_div_scale_f32 v10, null, v7, v7, v8
	v_div_scale_f32 v13, vcc_lo, v8, v7, v8
	s_waitcnt vmcnt(0)
	v_sub_f32_e32 v9, v9, v4
	v_rcp_f32_e32 v11, v10
	v_fma_f32 v12, -v10, v11, 1.0
	v_fmac_f32_e32 v11, v12, v11
	v_mul_f32_e32 v12, v13, v11
	v_fma_f32 v14, -v10, v12, v13
	v_fmac_f32_e32 v12, v14, v11
	v_fma_f32 v10, -v10, v12, v13
	v_div_fmas_f32 v10, v10, v11, v12
	v_div_fixup_f32 v7, v10, v7, v8
	v_sub_f32_e32 v7, v9, v7
	v_cmp_le_f32_e32 vcc_lo, v7, v2
	v_cmp_gt_f32_e64 s51, v7, -v2
	v_add_co_ci_u32_e64 v6, null, 0, v6, vcc_lo
	s_and_b32 s51, vcc_lo, s51
	s_add_u32 s48, s48, 4
	v_cndmask_b32_e64 v7, v7, -v2, s51
	s_addc_u32 s49, s49, 0
	s_add_u32 s2, s2, 4
	s_addc_u32 s3, s3, 0
	s_cmp_lg_u32 s50, 0
	s_cbranch_scc1 .LBB4_89
; %bb.90:                               ;   in Loop: Header=BB4_86 Depth=1
	s_inst_prefetch 0x2
	v_lshlrev_b32_e32 v7, 1, v0
	v_mov_b32_e32 v8, v1
	v_add_nc_u32_e32 v0, 0x100, v0
	v_lshlrev_b64 v[7:8], 2, v[7:8]
	v_cmp_le_i32_e32 vcc_lo, s33, v0
	s_or_b32 s37, vcc_lo, s37
	v_add_co_u32 v9, s2, s14, v7
	v_add_co_ci_u32_e64 v10, null, s15, v8, s2
	v_add_co_u32 v7, s2, s38, v7
	v_add_co_ci_u32_e64 v8, null, s39, v8, s2
	global_store_dwordx2 v[9:10], v[3:4], off offset:8
	global_store_dwordx2 v[7:8], v[5:6], off offset:8
	s_andn2_b32 exec_lo, exec_lo, s37
	s_cbranch_execnz .LBB4_86
.LBB4_91:
	s_or_b32 exec_lo, exec_lo, s35
	s_and_saveexec_b32 s35, s1
	s_cbranch_execz .LBB4_99
; %bb.92:
	v_mov_b32_e32 v6, 0
	s_add_u32 s2, s26, s4
	s_addc_u32 s3, s27, s5
	s_add_u32 s42, s44, s4
	s_addc_u32 s43, s45, s5
	s_clause 0x2
	global_load_dword v1, v6, s[2:3] offset:-4
	global_load_dword v5, v6, s[42:43] offset:-8
	global_load_dword v4, v6, s[26:27]
	s_cmp_gt_i32 s25, 1
	s_cselect_b32 s37, -1, 0
	s_cmp_lt_i32 s25, 2
	s_waitcnt vmcnt(1)
	v_sub_f32_e64 v0, v1, |v5|
	s_waitcnt vmcnt(0)
	v_sub_f32_e32 v7, v4, v0
	v_cmp_le_f32_e32 vcc_lo, v7, v2
	v_cndmask_b32_e64 v3, 0, 1, vcc_lo
	s_cbranch_scc1 .LBB4_95
; %bb.93:
	s_add_i32 s1, s6, 2
	v_cmp_gt_f32_e64 s26, v7, -v2
	s_mul_i32 s2, s7, s1
	s_ashr_i32 s3, s2, 31
	s_and_b32 s1, vcc_lo, s26
	s_lshl_b64 s[2:3], s[2:3], 2
	v_cndmask_b32_e64 v7, v7, -v2, s1
	s_add_u32 s1, s22, s2
	s_addc_u32 s3, s23, s3
	s_add_u32 s2, s1, 12
	s_addc_u32 s3, s3, 0
	;; [unrolled: 2-line block ×4, first 2 shown]
	s_mov_b32 s1, s33
	s_inst_prefetch 0x1
	.p2align	6
.LBB4_94:                               ; =>This Inner Loop Header: Depth=1
	s_clause 0x1
	global_load_dword v8, v6, s[2:3]
	global_load_dword v9, v6, s[26:27]
	s_add_i32 s1, s1, -1
	s_waitcnt vmcnt(1)
	v_div_scale_f32 v10, null, v7, v7, v8
	v_div_scale_f32 v13, vcc_lo, v8, v7, v8
	s_waitcnt vmcnt(0)
	v_sub_f32_e32 v9, v9, v0
	v_rcp_f32_e32 v11, v10
	v_fma_f32 v12, -v10, v11, 1.0
	v_fmac_f32_e32 v11, v12, v11
	v_mul_f32_e32 v12, v13, v11
	v_fma_f32 v14, -v10, v12, v13
	v_fmac_f32_e32 v12, v14, v11
	v_fma_f32 v10, -v10, v12, v13
	v_div_fmas_f32 v10, v10, v11, v12
	v_div_fixup_f32 v7, v10, v7, v8
	v_sub_f32_e32 v7, v9, v7
	v_cmp_le_f32_e32 vcc_lo, v7, v2
	v_cmp_gt_f32_e64 s42, v7, -v2
	v_add_co_ci_u32_e64 v3, null, 0, v3, vcc_lo
	s_and_b32 s42, vcc_lo, s42
	s_add_u32 s2, s2, 4
	v_cndmask_b32_e64 v7, v7, -v2, s42
	s_addc_u32 s3, s3, 0
	s_add_u32 s26, s26, 4
	s_addc_u32 s27, s27, 0
	s_cmp_lg_u32 s1, 0
	s_cbranch_scc1 .LBB4_94
.LBB4_95:
	s_inst_prefetch 0x2
	v_and_b32_e32 v5, 0x7fffffff, v5
	s_andn2_b32 vcc_lo, exec_lo, s37
	v_add_f32_e32 v1, v1, v5
	v_sub_f32_e32 v5, v4, v1
	v_cmp_le_f32_e64 s1, v5, v2
	v_cndmask_b32_e64 v4, 0, 1, s1
	s_cbranch_vccnz .LBB4_98
; %bb.96:
	s_add_i32 s2, s6, 2
	v_cmp_gt_f32_e64 s26, v5, -v2
	s_mul_i32 s2, s7, s2
	v_mov_b32_e32 v6, 0
	s_ashr_i32 s3, s2, 31
	s_and_b32 s1, s1, s26
	s_lshl_b64 s[2:3], s[2:3], 2
	v_cndmask_b32_e64 v5, v5, -v2, s1
	s_add_u32 s1, s22, s2
	s_addc_u32 s3, s23, s3
	s_add_u32 s2, s1, 12
	s_addc_u32 s3, s3, 0
	;; [unrolled: 2-line block ×4, first 2 shown]
	s_inst_prefetch 0x1
	.p2align	6
.LBB4_97:                               ; =>This Inner Loop Header: Depth=1
	s_clause 0x1
	global_load_dword v7, v6, s[2:3]
	global_load_dword v8, v6, s[8:9]
	s_add_i32 s33, s33, -1
	s_waitcnt vmcnt(1)
	v_div_scale_f32 v9, null, v5, v5, v7
	v_div_scale_f32 v12, vcc_lo, v7, v5, v7
	s_waitcnt vmcnt(0)
	v_sub_f32_e32 v8, v8, v1
	v_rcp_f32_e32 v10, v9
	v_fma_f32 v11, -v9, v10, 1.0
	v_fmac_f32_e32 v10, v11, v10
	v_mul_f32_e32 v11, v12, v10
	v_fma_f32 v13, -v9, v11, v12
	v_fmac_f32_e32 v11, v13, v10
	v_fma_f32 v9, -v9, v11, v12
	v_div_fmas_f32 v9, v9, v10, v11
	v_div_fixup_f32 v5, v9, v5, v7
	v_sub_f32_e32 v5, v8, v5
	v_cmp_le_f32_e32 vcc_lo, v5, v2
	v_cmp_gt_f32_e64 s1, v5, -v2
	v_add_co_ci_u32_e64 v4, null, 0, v4, vcc_lo
	s_and_b32 s1, vcc_lo, s1
	s_add_u32 s2, s2, 4
	v_cndmask_b32_e64 v5, v5, -v2, s1
	s_addc_u32 s3, s3, 0
	s_add_u32 s8, s8, 4
	s_addc_u32 s9, s9, 0
	s_cmp_lg_u32 s33, 0
	s_cbranch_scc1 .LBB4_97
.LBB4_98:
	s_inst_prefetch 0x2
	v_mov_b32_e32 v5, 0
	s_add_u32 s2, s14, s40
	s_addc_u32 s3, s15, s41
	global_store_dwordx2 v5, v[0:1], s[2:3]
	global_store_dwordx2 v5, v[3:4], s[18:19]
.LBB4_99:
	s_or_b32 exec_lo, exec_lo, s35
	s_mov_b32 s2, 0
	s_waitcnt_vscnt null, 0x0
	s_barrier
	buffer_gl0_inv
                                        ; implicit-def: $vgpr1
                                        ; implicit-def: $vgpr3
	s_and_saveexec_b32 s1, s0
	s_cbranch_execz .LBB4_122
; %bb.100:
	s_cmp_gt_i32 s25, 0
	s_mov_b32 s2, 1
	s_cselect_b32 s26, -1, 0
	s_cmp_lt_i32 s25, 1
	s_cbranch_scc1 .LBB4_107
; %bb.101:
	s_add_i32 s6, s6, 2
	s_lshl_b64 s[8:9], s[10:11], 3
	s_mul_i32 s6, s7, s6
	v_mov_b32_e32 v0, 0
	s_ashr_i32 s7, s6, 31
	s_lshl_b64 s[6:7], s[6:7], 2
	s_add_u32 s3, s8, s6
	s_addc_u32 s6, s9, s7
	s_add_u32 s3, s22, s3
	s_addc_u32 s7, s23, s6
	;; [unrolled: 2-line block ×3, first 2 shown]
	s_branch .LBB4_103
.LBB4_102:                              ;   in Loop: Header=BB4_103 Depth=1
	s_add_i32 s2, s2, 1
	s_add_u32 s6, s6, 4
	s_addc_u32 s7, s7, 0
	s_cmp_lg_u32 s2, s34
	s_cbranch_scc0 .LBB4_107
.LBB4_103:                              ; =>This Loop Header: Depth=1
                                        ;     Child Loop BB4_104 Depth 2
	s_ashr_i32 s3, s2, 31
	s_mov_b64 s[18:19], s[6:7]
	s_lshl_b64 s[10:11], s[2:3], 2
	s_add_i32 s3, s2, -1
	s_add_u32 s8, s14, s10
	s_addc_u32 s9, s15, s11
	s_mov_b32 s17, s2
	global_load_dword v1, v0, s[8:9] offset:4
	s_mov_b32 s16, s3
	s_waitcnt vmcnt(0)
	v_mov_b32_e32 v3, v1
.LBB4_104:                              ;   Parent Loop BB4_103 Depth=1
                                        ; =>  This Inner Loop Header: Depth=2
	global_load_dword v4, v0, s[18:19]
	s_waitcnt vmcnt(0)
	v_cmp_lt_f32_e32 vcc_lo, v4, v3
	s_and_b32 s22, vcc_lo, exec_lo
	v_cndmask_b32_e32 v3, v3, v4, vcc_lo
	s_cselect_b32 s16, s17, s16
	s_add_i32 s17, s17, 1
	s_add_u32 s18, s18, 4
	s_addc_u32 s19, s19, 0
	s_cmp_eq_u32 s34, s17
	s_cbranch_scc0 .LBB4_104
; %bb.105:                              ;   in Loop: Header=BB4_103 Depth=1
	s_cmp_lg_u32 s16, s3
	s_cbranch_scc0 .LBB4_102
; %bb.106:                              ;   in Loop: Header=BB4_103 Depth=1
	s_ashr_i32 s17, s16, 31
	s_lshl_b64 s[16:17], s[16:17], 2
	s_add_u32 s18, s14, s16
	s_addc_u32 s19, s15, s17
	s_add_u32 s16, s38, s16
	s_addc_u32 s17, s39, s17
	;; [unrolled: 2-line block ×3, first 2 shown]
	s_clause 0x1
	global_load_dword v4, v0, s[10:11] offset:4
	global_load_dword v5, v0, s[16:17] offset:8
	global_store_dword v0, v1, s[18:19] offset:8
	global_store_dword v0, v3, s[8:9] offset:4
	s_waitcnt vmcnt(1)
	global_store_dword v0, v4, s[16:17] offset:8
	s_waitcnt vmcnt(0)
	global_store_dword v0, v5, s[10:11] offset:4
	s_branch .LBB4_102
.LBB4_107:
	v_mov_b32_e32 v1, 0
	s_add_u32 s2, s14, s40
	s_addc_u32 s3, s15, s41
	v_cvt_f32_i32_e32 v5, s25
	s_clause 0x1
	global_load_dword v3, v1, s[14:15] offset:8
	global_load_dword v4, v1, s[2:3] offset:4
	s_waitcnt vmcnt(0)
	v_cmp_lt_f32_e64 vcc_lo, |v3|, |v4|
	v_cndmask_b32_e32 v0, v3, v4, vcc_lo
	s_andn2_b32 vcc_lo, exec_lo, s26
	v_mul_f32_e64 v6, s36, |v0|
	v_cndmask_b32_e64 v0, 0, 1, s26
	v_fma_f32 v3, -v6, v5, v3
	v_fmac_f32_e32 v4, v6, v5
	v_sub_f32_e32 v3, v3, v2
	v_add_f32_e32 v4, v2, v4
	global_store_dword v1, v3, s[14:15] offset:8
	global_store_dword v1, v4, s[2:3] offset:4
	s_cbranch_vccnz .LBB4_113
; %bb.108:
	s_max_i32 s7, s34, 2
	s_mov_b32 s8, 0
	s_add_i32 s7, s7, -1
	s_add_u32 s2, s4, s30
	s_addc_u32 s3, s5, s31
	s_add_u32 s2, s20, s2
	s_addc_u32 s3, s21, s3
	s_add_u32 s2, s2, 12
	s_addc_u32 s3, s3, 0
	s_branch .LBB4_110
	.p2align	6
.LBB4_109:                              ;   in Loop: Header=BB4_110 Depth=1
	s_add_i32 s8, s8, 1
	s_add_u32 s2, s2, 4
	s_addc_u32 s3, s3, 0
	s_cmp_eq_u32 s7, s8
	s_mov_b32 s6, s7
	s_cselect_b32 s9, -1, 0
	s_andn2_b32 vcc_lo, exec_lo, s9
	s_cbranch_vccz .LBB4_112
.LBB4_110:                              ; =>This Inner Loop Header: Depth=1
	global_load_dword v3, v1, s[2:3]
	s_waitcnt vmcnt(0)
	v_cmp_le_i32_e32 vcc_lo, s28, v3
	s_cbranch_vccz .LBB4_109
; %bb.111:
	s_mov_b32 s6, s8
                                        ; implicit-def: $sgpr2_sgpr3
.LBB4_112:
	s_mov_b32 s7, 0
	s_branch .LBB4_114
.LBB4_113:
	s_mov_b64 s[6:7], 0
.LBB4_114:
	s_lshl_b64 s[2:3], s[6:7], 2
	v_mov_b32_e32 v1, 0
	s_add_u32 s2, s14, s2
	s_addc_u32 s3, s15, s3
	v_cmp_ne_u32_e32 vcc_lo, 1, v0
	s_mov_b32 s6, 1
	global_load_dword v3, v1, s[2:3] offset:8
	s_cbranch_vccnz .LBB4_120
; %bb.115:
	s_max_i32 s7, s34, 2
	s_add_i32 s8, s7, -1
	s_add_u32 s2, s4, s30
	s_addc_u32 s3, s5, s31
	s_add_u32 s2, s20, s2
	s_addc_u32 s3, s21, s3
	;; [unrolled: 2-line block ×3, first 2 shown]
	s_branch .LBB4_117
	.p2align	6
.LBB4_116:
	s_mov_b32 s4, s6
                                        ; implicit-def: $sgpr2_sgpr3
	s_branch .LBB4_119
.LBB4_117:                              ; =>This Inner Loop Header: Depth=1
	global_load_dword v0, v1, s[2:3]
	s_waitcnt vmcnt(0)
	v_cmp_gt_i32_e32 vcc_lo, s29, v0
	s_cbranch_vccz .LBB4_116
; %bb.118:                              ;   in Loop: Header=BB4_117 Depth=1
	s_add_i32 s6, s6, 1
	s_add_u32 s2, s2, 4
	s_addc_u32 s3, s3, 0
	s_cmp_eq_u32 s7, s6
	s_mov_b32 s4, s8
	s_cselect_b32 s5, -1, 0
	s_andn2_b32 vcc_lo, exec_lo, s5
	s_cbranch_vccnz .LBB4_117
.LBB4_119:
	s_ashr_i32 s5, s4, 31
	s_branch .LBB4_121
.LBB4_120:
	s_mov_b64 s[4:5], 0
.LBB4_121:
	s_lshl_b64 s[4:5], s[4:5], 2
	v_mov_b32_e32 v0, 0
	s_add_u32 s4, s14, s4
	s_addc_u32 s5, s15, s5
	s_mov_b32 s2, exec_lo
	global_load_dword v1, v0, s[4:5] offset:8
.LBB4_122:
	s_or_b32 exec_lo, exec_lo, s1
.LBB4_123:
	s_and_saveexec_b32 s1, s2
	s_cbranch_execz .LBB4_126
; %bb.124:
	s_and_b32 exec_lo, exec_lo, s0
	s_cbranch_execz .LBB4_126
; %bb.125:
	s_cmpk_eq_i32 s24, 0xe7
	s_cselect_b32 s0, -1, 0
	s_waitcnt vmcnt(0)
	v_cndmask_b32_e64 v1, v1, 0, s0
	v_cndmask_b32_e64 v0, v3, 0, s0
	v_mov_b32_e32 v3, 0
	global_store_dwordx3 v3, v[0:2], s[12:13]
.LBB4_126:
	s_endpgm
	.section	.rodata,"a",@progbits
	.p2align	6, 0x0
	.amdhsa_kernel _ZN9rocsolver6v33100L19stedcx_split_kernelIfEEv15rocblas_erange_iT_S3_iiPS3_lS4_lS4_lPiS4_S3_S3_
		.amdhsa_group_segment_fixed_size 2048
		.amdhsa_private_segment_fixed_size 0
		.amdhsa_kernarg_size 352
		.amdhsa_user_sgpr_count 6
		.amdhsa_user_sgpr_private_segment_buffer 1
		.amdhsa_user_sgpr_dispatch_ptr 0
		.amdhsa_user_sgpr_queue_ptr 0
		.amdhsa_user_sgpr_kernarg_segment_ptr 1
		.amdhsa_user_sgpr_dispatch_id 0
		.amdhsa_user_sgpr_flat_scratch_init 0
		.amdhsa_user_sgpr_private_segment_size 0
		.amdhsa_wavefront_size32 1
		.amdhsa_uses_dynamic_stack 0
		.amdhsa_system_sgpr_private_segment_wavefront_offset 0
		.amdhsa_system_sgpr_workgroup_id_x 1
		.amdhsa_system_sgpr_workgroup_id_y 1
		.amdhsa_system_sgpr_workgroup_id_z 0
		.amdhsa_system_sgpr_workgroup_info 0
		.amdhsa_system_vgpr_workitem_id 0
		.amdhsa_next_free_vgpr 23
		.amdhsa_next_free_sgpr 52
		.amdhsa_reserve_vcc 1
		.amdhsa_reserve_flat_scratch 0
		.amdhsa_float_round_mode_32 0
		.amdhsa_float_round_mode_16_64 0
		.amdhsa_float_denorm_mode_32 3
		.amdhsa_float_denorm_mode_16_64 3
		.amdhsa_dx10_clamp 1
		.amdhsa_ieee_mode 1
		.amdhsa_fp16_overflow 0
		.amdhsa_workgroup_processor_mode 1
		.amdhsa_memory_ordered 1
		.amdhsa_forward_progress 1
		.amdhsa_shared_vgpr_count 0
		.amdhsa_exception_fp_ieee_invalid_op 0
		.amdhsa_exception_fp_denorm_src 0
		.amdhsa_exception_fp_ieee_div_zero 0
		.amdhsa_exception_fp_ieee_overflow 0
		.amdhsa_exception_fp_ieee_underflow 0
		.amdhsa_exception_fp_ieee_inexact 0
		.amdhsa_exception_int_div_zero 0
	.end_amdhsa_kernel
	.section	.text._ZN9rocsolver6v33100L19stedcx_split_kernelIfEEv15rocblas_erange_iT_S3_iiPS3_lS4_lS4_lPiS4_S3_S3_,"axG",@progbits,_ZN9rocsolver6v33100L19stedcx_split_kernelIfEEv15rocblas_erange_iT_S3_iiPS3_lS4_lS4_lPiS4_S3_S3_,comdat
.Lfunc_end4:
	.size	_ZN9rocsolver6v33100L19stedcx_split_kernelIfEEv15rocblas_erange_iT_S3_iiPS3_lS4_lS4_lPiS4_S3_S3_, .Lfunc_end4-_ZN9rocsolver6v33100L19stedcx_split_kernelIfEEv15rocblas_erange_iT_S3_iiPS3_lS4_lS4_lPiS4_S3_S3_
                                        ; -- End function
	.set _ZN9rocsolver6v33100L19stedcx_split_kernelIfEEv15rocblas_erange_iT_S3_iiPS3_lS4_lS4_lPiS4_S3_S3_.num_vgpr, 23
	.set _ZN9rocsolver6v33100L19stedcx_split_kernelIfEEv15rocblas_erange_iT_S3_iiPS3_lS4_lS4_lPiS4_S3_S3_.num_agpr, 0
	.set _ZN9rocsolver6v33100L19stedcx_split_kernelIfEEv15rocblas_erange_iT_S3_iiPS3_lS4_lS4_lPiS4_S3_S3_.numbered_sgpr, 52
	.set _ZN9rocsolver6v33100L19stedcx_split_kernelIfEEv15rocblas_erange_iT_S3_iiPS3_lS4_lS4_lPiS4_S3_S3_.num_named_barrier, 0
	.set _ZN9rocsolver6v33100L19stedcx_split_kernelIfEEv15rocblas_erange_iT_S3_iiPS3_lS4_lS4_lPiS4_S3_S3_.private_seg_size, 0
	.set _ZN9rocsolver6v33100L19stedcx_split_kernelIfEEv15rocblas_erange_iT_S3_iiPS3_lS4_lS4_lPiS4_S3_S3_.uses_vcc, 1
	.set _ZN9rocsolver6v33100L19stedcx_split_kernelIfEEv15rocblas_erange_iT_S3_iiPS3_lS4_lS4_lPiS4_S3_S3_.uses_flat_scratch, 0
	.set _ZN9rocsolver6v33100L19stedcx_split_kernelIfEEv15rocblas_erange_iT_S3_iiPS3_lS4_lS4_lPiS4_S3_S3_.has_dyn_sized_stack, 0
	.set _ZN9rocsolver6v33100L19stedcx_split_kernelIfEEv15rocblas_erange_iT_S3_iiPS3_lS4_lS4_lPiS4_S3_S3_.has_recursion, 0
	.set _ZN9rocsolver6v33100L19stedcx_split_kernelIfEEv15rocblas_erange_iT_S3_iiPS3_lS4_lS4_lPiS4_S3_S3_.has_indirect_call, 0
	.section	.AMDGPU.csdata,"",@progbits
; Kernel info:
; codeLenInByte = 6308
; TotalNumSgprs: 54
; NumVgprs: 23
; ScratchSize: 0
; MemoryBound: 0
; FloatMode: 240
; IeeeMode: 1
; LDSByteSize: 2048 bytes/workgroup (compile time only)
; SGPRBlocks: 0
; VGPRBlocks: 2
; NumSGPRsForWavesPerEU: 54
; NumVGPRsForWavesPerEU: 23
; Occupancy: 16
; WaveLimiterHint : 0
; COMPUTE_PGM_RSRC2:SCRATCH_EN: 0
; COMPUTE_PGM_RSRC2:USER_SGPR: 6
; COMPUTE_PGM_RSRC2:TRAP_HANDLER: 0
; COMPUTE_PGM_RSRC2:TGID_X_EN: 1
; COMPUTE_PGM_RSRC2:TGID_Y_EN: 1
; COMPUTE_PGM_RSRC2:TGID_Z_EN: 0
; COMPUTE_PGM_RSRC2:TIDIG_COMP_CNT: 0
	.section	.text._ZN9rocsolver6v33100L20stedcx_divide_kernelIfEEviPT_lS3_lPi,"axG",@progbits,_ZN9rocsolver6v33100L20stedcx_divide_kernelIfEEviPT_lS3_lPi,comdat
	.globl	_ZN9rocsolver6v33100L20stedcx_divide_kernelIfEEviPT_lS3_lPi ; -- Begin function _ZN9rocsolver6v33100L20stedcx_divide_kernelIfEEviPT_lS3_lPi
	.p2align	8
	.type	_ZN9rocsolver6v33100L20stedcx_divide_kernelIfEEviPT_lS3_lPi,@function
_ZN9rocsolver6v33100L20stedcx_divide_kernelIfEEviPT_lS3_lPi: ; @_ZN9rocsolver6v33100L20stedcx_divide_kernelIfEEviPT_lS3_lPi
; %bb.0:
	s_clause 0x1
	s_load_dword s16, s[4:5], 0x0
	s_load_dwordx2 s[0:1], s[4:5], 0x28
	s_mov_b32 s8, exec_lo
	s_waitcnt lgkmcnt(0)
	s_mul_i32 s2, s16, 5
	s_ashr_i32 s17, s16, 31
	s_add_i32 s2, s2, 2
	s_mul_i32 s2, s2, s6
	s_ashr_i32 s3, s2, 31
	s_lshl_b64 s[18:19], s[2:3], 2
	s_add_u32 s7, s0, s18
	s_addc_u32 s22, s1, s19
	s_lshl_b64 s[20:21], s[16:17], 2
	s_add_u32 s2, s7, s20
	s_addc_u32 s3, s22, s21
	s_load_dword s23, s[2:3], 0x4
	s_waitcnt lgkmcnt(0)
	v_cmpx_gt_i32_e64 s23, v0
	s_cbranch_execz .LBB5_21
; %bb.1:
	s_load_dwordx8 s[8:15], s[4:5], 0x8
	s_ashr_i32 s24, s6, 31
	v_mov_b32_e32 v1, 0
	s_waitcnt lgkmcnt(0)
	s_mul_hi_u32 s5, s10, s6
	s_mul_i32 s25, s10, s24
	s_mul_i32 s11, s11, s6
	s_add_i32 s5, s5, s25
	s_mul_i32 s4, s10, s6
	s_add_i32 s5, s5, s11
	s_mul_hi_u32 s10, s14, s6
	s_lshl_b64 s[4:5], s[4:5], 2
	s_mul_i32 s11, s14, s24
	s_add_u32 s8, s8, s4
	s_mul_i32 s15, s15, s6
	s_addc_u32 s9, s9, s5
	s_add_i32 s5, s10, s11
	s_mul_i32 s4, s14, s6
	s_add_i32 s5, s5, s15
	s_lshl_b64 s[10:11], s[4:5], 2
	s_mov_b32 s5, 0
	s_add_u32 s6, s12, s10
	s_addc_u32 s10, s13, s11
	s_add_u32 s11, s2, s20
	s_addc_u32 s12, s3, s21
	;; [unrolled: 2-line block ×5, first 2 shown]
	s_lshl_b64 s[16:17], s[16:17], 3
	s_add_u32 s15, s16, s18
	s_addc_u32 s16, s17, s19
	s_add_u32 s0, s0, s15
	s_addc_u32 s15, s1, s16
	;; [unrolled: 2-line block ×4, first 2 shown]
	s_mov_b32 s18, 0
	s_branch .LBB5_3
.LBB5_2:                                ;   in Loop: Header=BB5_3 Depth=1
	s_or_b32 exec_lo, exec_lo, s0
	v_add_nc_u32_e32 v0, 0x200, v0
	v_cmp_le_i32_e32 vcc_lo, s23, v0
	s_or_b32 s18, vcc_lo, s18
	s_andn2_b32 exec_lo, exec_lo, s18
	s_cbranch_execz .LBB5_21
.LBB5_3:                                ; =>This Loop Header: Depth=1
                                        ;     Child Loop BB5_13 Depth 2
                                        ;       Child Loop BB5_14 Depth 3
                                        ;     Child Loop BB5_17 Depth 2
	v_lshlrev_b64 v[2:3], 2, v[0:1]
	v_mov_b32_e32 v12, 0
	s_mov_b32 s0, exec_lo
	v_add_co_u32 v2, vcc_lo, s7, v2
	v_add_co_ci_u32_e64 v3, null, s22, v3, vcc_lo
	global_load_dwordx2 v[2:3], v[2:3], off
	s_waitcnt vmcnt(0)
	v_sub_nc_u32_e32 v10, v3, v2
	v_cmpx_lt_i32_e32 2, v10
	s_cbranch_execz .LBB5_11
; %bb.4:                                ;   in Loop: Header=BB5_3 Depth=1
	v_mov_b32_e32 v12, 1
	s_mov_b32 s4, exec_lo
	v_cmpx_lt_u32_e32 4, v10
	s_cbranch_execz .LBB5_10
; %bb.5:                                ;   in Loop: Header=BB5_3 Depth=1
	v_mov_b32_e32 v12, 2
	s_mov_b32 s19, exec_lo
	v_cmpx_lt_u32_e32 32, v10
	;; [unrolled: 5-line block ×3, first 2 shown]
; %bb.7:                                ;   in Loop: Header=BB5_3 Depth=1
	v_cmp_gt_u32_e32 vcc_lo, 0x128, v10
	v_cndmask_b32_e64 v3, 7, 5, vcc_lo
	v_cmp_gt_u32_e32 vcc_lo, 0x79b, v10
	v_cndmask_b32_e32 v12, 8, v3, vcc_lo
; %bb.8:                                ;   in Loop: Header=BB5_3 Depth=1
	s_or_b32 exec_lo, exec_lo, s20
.LBB5_9:                                ;   in Loop: Header=BB5_3 Depth=1
	s_or_b32 exec_lo, exec_lo, s19
.LBB5_10:                               ;   in Loop: Header=BB5_3 Depth=1
	s_or_b32 exec_lo, exec_lo, s4
.LBB5_11:                               ;   in Loop: Header=BB5_3 Depth=1
	s_or_b32 exec_lo, exec_lo, s0
	v_ashrrev_i32_e32 v3, 31, v2
	s_mov_b32 s0, exec_lo
	v_lshlrev_b64 v[6:7], 2, v[2:3]
	v_add_co_u32 v8, vcc_lo, s2, v6
	v_add_co_ci_u32_e64 v9, null, s3, v7, vcc_lo
	v_add_co_u32 v4, vcc_lo, s11, v6
	v_add_co_ci_u32_e64 v5, null, s12, v7, vcc_lo
	global_store_dword v[8:9], v10, off offset:8
	v_cmpx_ne_u32_e32 0, v12
	s_xor_b32 s19, exec_lo, s0
	s_cbranch_execz .LBB5_19
; %bb.12:                               ;   in Loop: Header=BB5_3 Depth=1
	v_add_co_u32 v3, vcc_lo, s13, v6
	v_add_co_ci_u32_e64 v13, null, s14, v7, vcc_lo
	s_mov_b32 s20, 0
	s_mov_b32 s21, 0
	s_inst_prefetch 0x1
	.p2align	6
.LBB5_13:                               ;   Parent Loop BB5_3 Depth=1
                                        ; =>  This Loop Header: Depth=2
                                        ;       Child Loop BB5_14 Depth 3
	s_lshl_b32 s4, 1, s21
	s_lshl_b64 s[24:25], s[4:5], 2
	v_add_co_u32 v10, vcc_lo, v3, s24
	v_add_co_ci_u32_e64 v11, null, s25, v13, vcc_lo
	s_add_i32 s24, s4, 1
	s_lshl_b32 s4, s4, 1
	.p2align	6
.LBB5_14:                               ;   Parent Loop BB5_3 Depth=1
                                        ;     Parent Loop BB5_13 Depth=2
                                        ; =>    This Inner Loop Header: Depth=3
	global_load_dword v17, v[10:11], off
	s_lshl_b64 s[26:27], s[4:5], 2
	v_add_co_u32 v10, vcc_lo, v10, -4
	v_add_co_ci_u32_e64 v11, null, -1, v11, vcc_lo
	s_add_i32 s24, s24, -1
	s_add_i32 s4, s4, -2
	s_cmp_lt_u32 s24, 2
	s_waitcnt vmcnt(0)
	v_lshrrev_b32_e32 v14, 31, v17
	v_add_nc_u32_e32 v15, v17, v14
	v_add_co_u32 v14, s0, v8, s26
	v_and_b32_e32 v18, -2, v15
	v_ashrrev_i32_e32 v16, 1, v15
	v_add_co_ci_u32_e64 v15, null, s27, v9, s0
	v_cmp_lt_i32_e64 s0, v18, v17
	v_add_co_ci_u32_e64 v17, null, 0, v16, s0
	global_store_dwordx2 v[14:15], v[16:17], off
	s_cbranch_scc0 .LBB5_14
; %bb.15:                               ;   in Loop: Header=BB5_13 Depth=2
	s_add_i32 s21, s21, 1
	v_cmp_eq_u32_e32 vcc_lo, s21, v12
	s_or_b32 s20, vcc_lo, s20
	s_andn2_b32 exec_lo, exec_lo, s20
	s_cbranch_execnz .LBB5_13
; %bb.16:                               ;   in Loop: Header=BB5_3 Depth=1
	s_inst_prefetch 0x2
	s_or_b32 exec_lo, exec_lo, s20
	v_add_co_u32 v8, vcc_lo, s1, v6
	v_add_co_ci_u32_e64 v9, null, s15, v7, vcc_lo
	v_add_co_u32 v6, vcc_lo, s16, v6
	v_add_co_ci_u32_e64 v7, null, s17, v7, vcc_lo
	s_mov_b32 s20, 2
	s_mov_b32 s4, 0
	global_store_dword v[4:5], v2, off offset:8
	s_inst_prefetch 0x1
	.p2align	6
.LBB5_17:                               ;   Parent Loop BB5_3 Depth=1
                                        ; =>  This Inner Loop Header: Depth=2
	global_load_dword v3, v[6:7], off
	v_lshrrev_b32_e64 v13, v12, s20
	s_add_i32 s20, s20, 1
	s_waitcnt vmcnt(0)
	v_add_nc_u32_e32 v2, v3, v2
	v_ashrrev_i32_e32 v3, 31, v2
	v_lshlrev_b64 v[3:4], 2, v[2:3]
	v_add_co_u32 v10, vcc_lo, s6, v3
	v_add_co_ci_u32_e64 v11, null, s10, v4, vcc_lo
	v_add_co_u32 v3, vcc_lo, s8, v3
	v_add_co_ci_u32_e64 v4, null, s9, v4, vcc_lo
	global_load_dword v5, v[10:11], off offset:-4
	global_load_dwordx2 v[10:11], v[3:4], off offset:-4
	v_add_co_u32 v6, vcc_lo, v6, 4
	v_add_co_ci_u32_e64 v7, null, 0, v7, vcc_lo
	v_cmp_ne_u32_e32 vcc_lo, 0, v13
	global_store_dword v[8:9], v2, off
	v_add_co_u32 v8, s0, v8, 4
	v_add_co_ci_u32_e64 v9, null, 0, v9, s0
	s_or_b32 s4, vcc_lo, s4
	s_waitcnt vmcnt(0)
	v_sub_f32_e32 v11, v11, v5
	v_sub_f32_e32 v10, v10, v5
	global_store_dwordx2 v[3:4], v[10:11], off offset:-4
	s_andn2_b32 exec_lo, exec_lo, s4
	s_cbranch_execnz .LBB5_17
; %bb.18:                               ;   in Loop: Header=BB5_3 Depth=1
	s_inst_prefetch 0x2
	s_or_b32 exec_lo, exec_lo, s4
                                        ; implicit-def: $vgpr4_vgpr5
                                        ; implicit-def: $vgpr2_vgpr3
.LBB5_19:                               ;   in Loop: Header=BB5_3 Depth=1
	s_andn2_saveexec_b32 s0, s19
	s_cbranch_execz .LBB5_2
; %bb.20:                               ;   in Loop: Header=BB5_3 Depth=1
	global_store_dword v[4:5], v2, off offset:8
	s_branch .LBB5_2
.LBB5_21:
	s_endpgm
	.section	.rodata,"a",@progbits
	.p2align	6, 0x0
	.amdhsa_kernel _ZN9rocsolver6v33100L20stedcx_divide_kernelIfEEviPT_lS3_lPi
		.amdhsa_group_segment_fixed_size 0
		.amdhsa_private_segment_fixed_size 0
		.amdhsa_kernarg_size 48
		.amdhsa_user_sgpr_count 6
		.amdhsa_user_sgpr_private_segment_buffer 1
		.amdhsa_user_sgpr_dispatch_ptr 0
		.amdhsa_user_sgpr_queue_ptr 0
		.amdhsa_user_sgpr_kernarg_segment_ptr 1
		.amdhsa_user_sgpr_dispatch_id 0
		.amdhsa_user_sgpr_flat_scratch_init 0
		.amdhsa_user_sgpr_private_segment_size 0
		.amdhsa_wavefront_size32 1
		.amdhsa_uses_dynamic_stack 0
		.amdhsa_system_sgpr_private_segment_wavefront_offset 0
		.amdhsa_system_sgpr_workgroup_id_x 1
		.amdhsa_system_sgpr_workgroup_id_y 0
		.amdhsa_system_sgpr_workgroup_id_z 0
		.amdhsa_system_sgpr_workgroup_info 0
		.amdhsa_system_vgpr_workitem_id 0
		.amdhsa_next_free_vgpr 19
		.amdhsa_next_free_sgpr 28
		.amdhsa_reserve_vcc 1
		.amdhsa_reserve_flat_scratch 0
		.amdhsa_float_round_mode_32 0
		.amdhsa_float_round_mode_16_64 0
		.amdhsa_float_denorm_mode_32 3
		.amdhsa_float_denorm_mode_16_64 3
		.amdhsa_dx10_clamp 1
		.amdhsa_ieee_mode 1
		.amdhsa_fp16_overflow 0
		.amdhsa_workgroup_processor_mode 1
		.amdhsa_memory_ordered 1
		.amdhsa_forward_progress 1
		.amdhsa_shared_vgpr_count 0
		.amdhsa_exception_fp_ieee_invalid_op 0
		.amdhsa_exception_fp_denorm_src 0
		.amdhsa_exception_fp_ieee_div_zero 0
		.amdhsa_exception_fp_ieee_overflow 0
		.amdhsa_exception_fp_ieee_underflow 0
		.amdhsa_exception_fp_ieee_inexact 0
		.amdhsa_exception_int_div_zero 0
	.end_amdhsa_kernel
	.section	.text._ZN9rocsolver6v33100L20stedcx_divide_kernelIfEEviPT_lS3_lPi,"axG",@progbits,_ZN9rocsolver6v33100L20stedcx_divide_kernelIfEEviPT_lS3_lPi,comdat
.Lfunc_end5:
	.size	_ZN9rocsolver6v33100L20stedcx_divide_kernelIfEEviPT_lS3_lPi, .Lfunc_end5-_ZN9rocsolver6v33100L20stedcx_divide_kernelIfEEviPT_lS3_lPi
                                        ; -- End function
	.set _ZN9rocsolver6v33100L20stedcx_divide_kernelIfEEviPT_lS3_lPi.num_vgpr, 19
	.set _ZN9rocsolver6v33100L20stedcx_divide_kernelIfEEviPT_lS3_lPi.num_agpr, 0
	.set _ZN9rocsolver6v33100L20stedcx_divide_kernelIfEEviPT_lS3_lPi.numbered_sgpr, 28
	.set _ZN9rocsolver6v33100L20stedcx_divide_kernelIfEEviPT_lS3_lPi.num_named_barrier, 0
	.set _ZN9rocsolver6v33100L20stedcx_divide_kernelIfEEviPT_lS3_lPi.private_seg_size, 0
	.set _ZN9rocsolver6v33100L20stedcx_divide_kernelIfEEviPT_lS3_lPi.uses_vcc, 1
	.set _ZN9rocsolver6v33100L20stedcx_divide_kernelIfEEviPT_lS3_lPi.uses_flat_scratch, 0
	.set _ZN9rocsolver6v33100L20stedcx_divide_kernelIfEEviPT_lS3_lPi.has_dyn_sized_stack, 0
	.set _ZN9rocsolver6v33100L20stedcx_divide_kernelIfEEviPT_lS3_lPi.has_recursion, 0
	.set _ZN9rocsolver6v33100L20stedcx_divide_kernelIfEEviPT_lS3_lPi.has_indirect_call, 0
	.section	.AMDGPU.csdata,"",@progbits
; Kernel info:
; codeLenInByte = 1028
; TotalNumSgprs: 30
; NumVgprs: 19
; ScratchSize: 0
; MemoryBound: 0
; FloatMode: 240
; IeeeMode: 1
; LDSByteSize: 0 bytes/workgroup (compile time only)
; SGPRBlocks: 0
; VGPRBlocks: 2
; NumSGPRsForWavesPerEU: 30
; NumVGPRsForWavesPerEU: 19
; Occupancy: 16
; WaveLimiterHint : 1
; COMPUTE_PGM_RSRC2:SCRATCH_EN: 0
; COMPUTE_PGM_RSRC2:USER_SGPR: 6
; COMPUTE_PGM_RSRC2:TRAP_HANDLER: 0
; COMPUTE_PGM_RSRC2:TGID_X_EN: 1
; COMPUTE_PGM_RSRC2:TGID_Y_EN: 0
; COMPUTE_PGM_RSRC2:TGID_Z_EN: 0
; COMPUTE_PGM_RSRC2:TIDIG_COMP_CNT: 0
	.section	.text._ZN9rocsolver6v33100L19stedcx_solve_kernelIfEEviPT_lS3_lS3_iilPiS3_S4_S2_S2_S2_,"axG",@progbits,_ZN9rocsolver6v33100L19stedcx_solve_kernelIfEEviPT_lS3_lS3_iilPiS3_S4_S2_S2_S2_,comdat
	.globl	_ZN9rocsolver6v33100L19stedcx_solve_kernelIfEEviPT_lS3_lS3_iilPiS3_S4_S2_S2_S2_ ; -- Begin function _ZN9rocsolver6v33100L19stedcx_solve_kernelIfEEviPT_lS3_lS3_iilPiS3_S4_S2_S2_S2_
	.p2align	8
	.type	_ZN9rocsolver6v33100L19stedcx_solve_kernelIfEEviPT_lS3_lS3_iilPiS3_S4_S2_S2_S2_,@function
_ZN9rocsolver6v33100L19stedcx_solve_kernelIfEEviPT_lS3_lS3_iilPiS3_S4_S2_S2_S2_: ; @_ZN9rocsolver6v33100L19stedcx_solve_kernelIfEEviPT_lS3_lS3_iilPiS3_S4_S2_S2_S2_
; %bb.0:
	s_clause 0x1
	s_load_dwordx4 s[28:31], s[4:5], 0x28
	s_load_dwordx8 s[12:19], s[4:5], 0x38
	s_mov_b32 s10, s7
	s_waitcnt lgkmcnt(0)
	s_cmp_lg_u64 s[28:29], 0
	s_cbranch_scc0 .LBB6_243
; %bb.1:
	s_ashr_i32 s9, s8, 31
	s_mul_hi_u32 s0, s12, s8
	s_mul_i32 s1, s12, s9
	s_mul_i32 s2, s13, s8
	s_add_i32 s1, s0, s1
	s_mul_i32 s0, s12, s8
	s_add_i32 s1, s1, s2
	s_ashr_i32 s3, s30, 31
	s_lshl_b64 s[0:1], s[0:1], 2
	s_mov_b32 s2, s30
	s_add_u32 s7, s28, s0
	s_addc_u32 s11, s29, s1
	s_lshl_b64 s[0:1], s[2:3], 2
	s_add_u32 s12, s7, s0
	s_addc_u32 s13, s11, s1
	s_cbranch_execnz .LBB6_3
.LBB6_2:
	s_ashr_i32 s9, s8, 31
                                        ; implicit-def: $sgpr12_sgpr13
.LBB6_3:
	s_load_dword s0, s[4:5], 0x0
	s_waitcnt lgkmcnt(0)
	s_mul_i32 s1, s0, 5
	s_add_i32 s1, s1, 2
	s_mul_i32 s2, s1, s8
	s_ashr_i32 s3, s2, 31
	s_lshl_b64 s[2:3], s[2:3], 2
	s_add_u32 s30, s18, s2
	s_addc_u32 s33, s19, s3
	s_ashr_i32 s1, s0, 31
	s_lshl_b64 s[28:29], s[0:1], 2
	s_add_u32 s2, s30, s28
	s_addc_u32 s3, s33, s29
	s_load_dword s60, s[2:3], 0x4
	s_waitcnt lgkmcnt(0)
	s_cmp_ge_i32 s10, s60
	s_cbranch_scc1 .LBB6_242
; %bb.4:
	s_clause 0x2
	s_load_dwordx8 s[20:27], s[4:5], 0x8
	s_load_dword s11, s[4:5], 0x74
	s_load_dwordx4 s[36:39], s[4:5], 0x58
	s_mul_i32 s7, s8, s0
	v_lshlrev_b32_e32 v1, 2, v0
                                        ; implicit-def: $vgpr71 : SGPR spill to VGPR lane
	v_mov_b32_e32 v2, 0
                                        ; implicit-def: $vgpr44
                                        ; implicit-def: $vgpr11_vgpr12
                                        ; implicit-def: $vgpr13_vgpr14
                                        ; implicit-def: $vgpr15_vgpr16
                                        ; implicit-def: $vgpr3_vgpr4
                                        ; implicit-def: $vgpr43
                                        ; implicit-def: $vgpr9_vgpr10
                                        ; implicit-def: $vgpr42
                                        ; implicit-def: $vgpr5_vgpr6
                                        ; implicit-def: $vgpr7_vgpr8
	s_waitcnt lgkmcnt(0)
	s_mul_i32 s1, s22, s9
	s_mul_hi_u32 s4, s22, s8
	s_mul_i32 s5, s23, s8
	s_add_i32 s1, s4, s1
	s_mul_i32 s0, s22, s8
	s_add_i32 s1, s1, s5
	s_mul_i32 s4, s26, s9
	s_lshl_b64 s[0:1], s[0:1], 2
	s_mul_hi_u32 s5, s26, s8
	s_add_u32 s39, s20, s0
	s_mul_i32 s18, s27, s8
	s_addc_u32 s61, s21, s1
	s_add_i32 s1, s5, s4
	s_mul_i32 s0, s26, s8
	s_add_i32 s1, s1, s18
	v_mul_f32_e64 v39, s36, s36
	s_lshl_b64 s[18:19], s[0:1], 2
	v_cmp_eq_u32_e64 s0, 0, v0
	s_add_u32 s62, s24, s18
	s_addc_u32 s63, s25, s19
	s_lshl_b64 s[18:19], s[8:9], 2
	v_add_co_u32 v37, s9, s12, v1
	s_add_u32 s14, s14, s18
	s_addc_u32 s15, s15, s19
	s_lshl_b32 s18, s7, 1
	v_add_co_ci_u32_e64 v38, null, s13, 0, s9
	s_ashr_i32 s19, s18, 31
	s_mov_b32 s8, s31
	s_lshl_b64 s[20:21], s[18:19], 2
	s_mov_b32 s18, 0x667f3bcd
	s_add_u32 s64, s16, s20
	s_addc_u32 s65, s17, s21
	s_and_b32 s66, 0xffff, s11
	s_add_u32 s1, s2, s28
	s_addc_u32 s4, s3, s29
	s_ashr_i32 s7, s6, 31
	s_mov_b32 s5, 0
	s_lshl_b64 s[16:17], s[6:7], 2
	s_mov_b32 s19, 0x3ff6a09e
	s_add_u32 s7, s2, s16
	s_addc_u32 s67, s3, s17
	s_add_u32 s68, s1, s16
	s_addc_u32 s69, s4, s17
	s_ashr_i32 s9, s31, 31
	s_add_u32 s1, s39, 4
	v_writelane_b32 v71, s1, 0
	s_addc_u32 s1, s61, 0
	s_lshl_b32 s72, s66, 2
	s_add_u32 s73, s64, -8
	s_addc_u32 s74, s65, -1
	s_add_u32 s75, s64, -4
	s_addc_u32 s76, s65, -1
	s_add_u32 s77, s62, -4
	v_writelane_b32 v71, s1, 1
	s_addc_u32 s78, s63, -1
	s_lshl_b64 s[16:17], s[8:9], 2
	v_add_co_u32 v40, s1, s62, v1
	v_add_co_ci_u32_e64 v41, null, s63, 0, s1
	s_sub_u32 s79, 0, s16
	s_subb_u32 s80, 0, s17
	s_add_u32 s81, s39, -4
	s_addc_u32 s82, s61, -1
	s_branch .LBB6_7
.LBB6_5:                                ;   in Loop: Header=BB6_7 Depth=1
	s_inst_prefetch 0x2
	s_or_b32 exec_lo, exec_lo, s2
	s_waitcnt_vscnt null, 0x0
	s_barrier
	buffer_gl0_inv
.LBB6_6:                                ;   in Loop: Header=BB6_7 Depth=1
	s_add_i32 s10, s10, 8
	s_cmp_ge_i32 s10, s60
	s_cbranch_scc1 .LBB6_242
.LBB6_7:                                ; =>This Loop Header: Depth=1
                                        ;     Child Loop BB6_20 Depth 2
                                        ;       Child Loop BB6_28 Depth 3
                                        ;       Child Loop BB6_41 Depth 3
	;; [unrolled: 1-line block ×5, first 2 shown]
                                        ;         Child Loop BB6_166 Depth 4
                                        ;         Child Loop BB6_186 Depth 4
	;; [unrolled: 1-line block ×3, first 2 shown]
                                        ;           Child Loop BB6_234 Depth 5
                                        ;       Child Loop BB6_81 Depth 3
                                        ;         Child Loop BB6_88 Depth 4
                                        ;         Child Loop BB6_108 Depth 4
	;; [unrolled: 1-line block ×3, first 2 shown]
                                        ;           Child Loop BB6_156 Depth 5
                                        ;       Child Loop BB6_71 Depth 3
                                        ;       Child Loop BB6_78 Depth 3
                                        ;     Child Loop BB6_239 Depth 2
	s_ashr_i32 s11, s10, 31
	s_lshl_b64 s[2:3], s[10:11], 2
	s_add_u32 s2, s30, s2
	s_addc_u32 s3, s33, s3
	global_load_dwordx2 v[17:18], v2, s[2:3]
	s_waitcnt vmcnt(0)
	v_readfirstlane_b32 s2, v17
	v_readfirstlane_b32 s1, v18
	s_sub_i32 s11, s1, s2
	s_mov_b32 s1, s5
	s_cmp_lt_i32 s11, 3
	s_cbranch_scc1 .LBB6_12
; %bb.8:                                ;   in Loop: Header=BB6_7 Depth=1
	s_cmp_lt_u32 s11, 5
	s_mov_b32 s1, 1
	s_cbranch_scc1 .LBB6_12
; %bb.9:                                ;   in Loop: Header=BB6_7 Depth=1
	s_cmp_lt_u32 s11, 33
	s_mov_b32 s1, 2
	s_cbranch_scc1 .LBB6_12
; %bb.10:                               ;   in Loop: Header=BB6_7 Depth=1
	s_cmpk_lt_u32 s11, 0xe9
	s_mov_b32 s1, 4
	s_cbranch_scc1 .LBB6_12
; %bb.11:                               ;   in Loop: Header=BB6_7 Depth=1
	s_cmpk_lt_u32 s11, 0x128
	s_cselect_b32 s1, 5, 7
	s_cmpk_lt_u32 s11, 0x79b
	s_cselect_b32 s1, s1, 8
.LBB6_12:                               ;   in Loop: Header=BB6_7 Depth=1
	s_lshl_b32 s1, 1, s1
	s_cmp_ge_i32 s6, s1
	s_cbranch_scc1 .LBB6_6
; %bb.13:                               ;   in Loop: Header=BB6_7 Depth=1
	s_ashr_i32 s3, s2, 31
	s_lshl_b64 s[2:3], s[2:3], 2
	s_add_u32 s20, s7, s2
	s_addc_u32 s21, s67, s3
	s_add_u32 s2, s68, s2
	s_addc_u32 s3, s69, s3
	s_clause 0x1
	global_load_dword v1, v2, s[20:21] offset:8
	global_load_dword v17, v2, s[2:3] offset:8
	s_waitcnt vmcnt(1)
	v_readfirstlane_b32 s24, v1
	s_waitcnt vmcnt(0)
	v_readfirstlane_b32 s22, v17
	s_and_saveexec_b32 s1, s0
; %bb.14:                               ;   in Loop: Header=BB6_7 Depth=1
	ds_write2_b32 v2, v2, v2 offset0:3 offset1:7
; %bb.15:                               ;   in Loop: Header=BB6_7 Depth=1
	s_or_b32 exec_lo, exec_lo, s1
	s_waitcnt lgkmcnt(0)
	s_barrier
	buffer_gl0_inv
	ds_read2_b32 v[17:18], v2 offset0:3 offset1:7
	s_mul_i32 s11, s11, 30
	s_ashr_i32 s23, s22, 31
	s_add_i32 s20, s24, -1
	s_waitcnt lgkmcnt(0)
	v_cmp_gt_i32_e32 vcc_lo, s24, v17
	v_cmp_gt_i32_e64 s1, s11, v18
	v_readfirstlane_b32 s50, v17
	s_and_b32 s1, vcc_lo, s1
	s_andn2_b32 vcc_lo, exec_lo, s1
	s_cbranch_vccnz .LBB6_236
; %bb.16:                               ;   in Loop: Header=BB6_7 Depth=1
	s_lshl_b64 s[26:27], s[22:23], 2
	s_mul_i32 s2, s22, s31
	s_add_u32 s28, s39, s26
	s_addc_u32 s29, s61, s27
	s_add_u32 s83, s62, s26
	s_addc_u32 s84, s63, s27
	;; [unrolled: 2-line block ×3, first 2 shown]
	s_ashr_i32 s3, s2, 31
	s_lshl_b64 s[2:3], s[2:3], 2
	s_add_u32 s85, s1, s2
	s_addc_u32 s86, s4, s3
	s_lshl_b32 s34, s22, 1
	v_readlane_b32 s1, v71, 0
	s_ashr_i32 s35, s34, 31
	s_lshl_b64 s[48:49], s[34:35], 2
	s_add_u32 s34, s64, s48
	s_addc_u32 s35, s65, s49
	s_ashr_i32 s25, s24, 31
	s_add_u32 s87, s62, s26
	s_addc_u32 s88, s63, s27
	s_add_u32 s89, s1, s26
	v_readlane_b32 s1, v71, 1
	s_addc_u32 s90, s1, s27
	s_add_u32 s91, s39, s26
	s_addc_u32 s92, s61, s27
	s_lshl_b64 s[40:41], s[24:25], 2
	v_cmp_gt_i32_e64 s1, s24, v0
	s_add_u32 s4, s40, s48
	s_addc_u32 s21, s41, s49
	s_add_u32 s42, s73, s4
	s_addc_u32 s43, s74, s21
	;; [unrolled: 2-line block ×4, first 2 shown]
	s_add_u32 s25, s40, -4
	s_addc_u32 s93, s41, -1
	s_add_u32 s94, s64, s48
	s_addc_u32 s95, s65, s49
	s_add_u32 s2, s26, s2
	s_addc_u32 s3, s27, s3
	v_add_co_u32 v45, vcc_lo, v37, s2
	v_add_co_ci_u32_e64 v46, null, s3, v38, vcc_lo
	s_add_u32 s96, s81, s26
	s_addc_u32 s97, s82, s27
	s_add_u32 s48, s75, s4
	s_addc_u32 s49, s76, s21
	s_branch .LBB6_20
.LBB6_17:                               ;   in Loop: Header=BB6_20 Depth=2
	s_or_b32 exec_lo, exec_lo, s3
.LBB6_18:                               ;   in Loop: Header=BB6_20 Depth=2
	s_waitcnt_vscnt null, 0x0
	s_barrier
	buffer_gl0_inv
.LBB6_19:                               ;   in Loop: Header=BB6_20 Depth=2
	ds_read2_b32 v[17:18], v2 offset0:3 offset1:7
	s_waitcnt lgkmcnt(0)
	v_cmp_gt_i32_e32 vcc_lo, s24, v17
	v_cmp_gt_i32_e64 s2, s11, v18
	v_readfirstlane_b32 s50, v17
	s_and_b32 s2, vcc_lo, s2
	s_andn2_b32 vcc_lo, exec_lo, s2
	s_cbranch_vccnz .LBB6_236
.LBB6_20:                               ;   Parent Loop BB6_7 Depth=1
                                        ; =>  This Loop Header: Depth=2
                                        ;       Child Loop BB6_28 Depth 3
                                        ;       Child Loop BB6_41 Depth 3
	;; [unrolled: 1-line block ×5, first 2 shown]
                                        ;         Child Loop BB6_166 Depth 4
                                        ;         Child Loop BB6_186 Depth 4
	;; [unrolled: 1-line block ×3, first 2 shown]
                                        ;           Child Loop BB6_234 Depth 5
                                        ;       Child Loop BB6_81 Depth 3
                                        ;         Child Loop BB6_88 Depth 4
                                        ;         Child Loop BB6_108 Depth 4
                                        ;         Child Loop BB6_155 Depth 4
                                        ;           Child Loop BB6_156 Depth 5
                                        ;       Child Loop BB6_71 Depth 3
                                        ;       Child Loop BB6_78 Depth 3
	s_and_saveexec_b32 s4, s0
	s_cbranch_execz .LBB6_44
; %bb.21:                               ;   in Loop: Header=BB6_20 Depth=2
	s_cmp_lt_i32 s50, 1
	s_cbranch_scc1 .LBB6_23
; %bb.22:                               ;   in Loop: Header=BB6_20 Depth=2
	s_mov_b32 s51, s5
	s_lshl_b64 s[2:3], s[50:51], 2
	s_add_u32 s2, s83, s2
	s_addc_u32 s3, s84, s3
	global_store_dword v2, v2, s[2:3] offset:-4
.LBB6_23:                               ;   in Loop: Header=BB6_20 Depth=2
	s_mov_b32 s2, -1
	s_mov_b32 s56, 0
	s_cmp_lt_i32 s50, s20
	s_mov_b32 s98, 0
	s_cbranch_scc1 .LBB6_25
; %bb.24:                               ;   in Loop: Header=BB6_20 Depth=2
	s_ashr_i32 s51, s50, 31
	s_mov_b32 s2, 0
	s_mov_b32 s98, -1
.LBB6_25:                               ;   in Loop: Header=BB6_20 Depth=2
	s_andn2_b32 vcc_lo, exec_lo, s2
	s_cbranch_vccnz .LBB6_30
; %bb.26:                               ;   in Loop: Header=BB6_20 Depth=2
	s_ashr_i32 s51, s50, 31
	s_lshl_b64 s[2:3], s[50:51], 2
	s_mov_b64 s[56:57], s[50:51]
	s_add_u32 s58, s87, s2
	s_addc_u32 s59, s88, s3
	s_add_u32 s54, s89, s2
	s_addc_u32 s55, s90, s3
	s_branch .LBB6_28
.LBB6_27:                               ;   in Loop: Header=BB6_28 Depth=3
	s_andn2_b32 vcc_lo, exec_lo, s70
	s_cbranch_vccz .LBB6_31
.LBB6_28:                               ;   Parent Loop BB6_7 Depth=1
                                        ;     Parent Loop BB6_20 Depth=2
                                        ; =>    This Inner Loop Header: Depth=3
	s_clause 0x1
	global_load_dwordx2 v[11:12], v2, s[54:55] offset:-4
	global_load_dword v1, v2, s[58:59]
	s_mov_b64 s[52:53], s[58:59]
	s_mov_b32 s21, -1
	s_mov_b32 s70, -1
	s_waitcnt vmcnt(1)
	v_mul_f32_e64 v13, 0x4f800000, |v11|
	v_cmp_gt_f32_e64 vcc_lo, 0xf800000, |v11|
	v_mul_f32_e64 v14, 0x4f800000, |v12|
	v_cmp_gt_f32_e64 s2, 0xf800000, |v12|
	v_cndmask_b32_e64 v11, |v11|, v13, vcc_lo
	v_cndmask_b32_e64 v12, |v12|, v14, s2
	v_sqrt_f32_e32 v13, v11
	v_sqrt_f32_e32 v14, v12
	v_add_nc_u32_e32 v15, -1, v13
	v_add_nc_u32_e32 v17, 1, v13
	v_add_nc_u32_e32 v16, -1, v14
	v_add_nc_u32_e32 v18, 1, v14
	v_fma_f32 v19, -v15, v13, v11
	v_fma_f32 v21, -v17, v13, v11
	;; [unrolled: 1-line block ×4, first 2 shown]
	v_cmp_ge_f32_e64 s3, 0, v19
	v_cndmask_b32_e64 v13, v13, v15, s3
	v_cmp_ge_f32_e64 s3, 0, v20
	v_cndmask_b32_e64 v14, v14, v16, s3
	v_cmp_lt_f32_e64 s3, 0, v21
	v_cndmask_b32_e64 v13, v13, v17, s3
	v_cmp_lt_f32_e64 s3, 0, v22
	v_mul_f32_e32 v15, 0x37800000, v13
	v_cndmask_b32_e64 v14, v14, v18, s3
	v_cndmask_b32_e32 v13, v13, v15, vcc_lo
	v_mul_f32_e32 v16, 0x37800000, v14
	v_cmp_class_f32_e64 vcc_lo, v11, 0x260
	v_cndmask_b32_e64 v14, v14, v16, s2
	v_cndmask_b32_e32 v11, v13, v11, vcc_lo
	v_cmp_class_f32_e64 vcc_lo, v12, 0x260
	s_mov_b64 s[2:3], s[56:57]
                                        ; implicit-def: $sgpr56_sgpr57
	v_cndmask_b32_e32 v12, v14, v12, vcc_lo
	v_mul_f32_e32 v11, v11, v12
	v_mul_f32_e32 v11, s36, v11
	s_waitcnt vmcnt(0)
	v_cmp_nle_f32_e64 s58, |v1|, v11
	s_and_b32 vcc_lo, exec_lo, s58
                                        ; implicit-def: $sgpr58_sgpr59
	s_cbranch_vccz .LBB6_27
; %bb.29:                               ;   in Loop: Header=BB6_28 Depth=3
	s_add_u32 s56, s2, 1
	s_addc_u32 s57, s3, 0
	s_add_u32 s58, s52, 4
	s_addc_u32 s59, s53, 0
	;; [unrolled: 2-line block ×3, first 2 shown]
	s_cmp_ge_i32 s56, s20
	s_mov_b32 s21, 0
	s_cselect_b32 s70, -1, 0
	s_branch .LBB6_27
.LBB6_30:                               ;   in Loop: Header=BB6_20 Depth=2
	s_mov_b32 s2, s50
	s_mov_b64 s[54:55], s[50:51]
	s_and_b32 vcc_lo, exec_lo, s98
	s_cbranch_vccnz .LBB6_34
	s_branch .LBB6_35
.LBB6_31:                               ;   in Loop: Header=BB6_20 Depth=2
	s_xor_b32 s21, s21, -1
	s_mov_b32 s56, -1
	s_and_b32 vcc_lo, exec_lo, s21
                                        ; implicit-def: $sgpr54_sgpr55
	s_cbranch_vccz .LBB6_33
; %bb.32:                               ;   in Loop: Header=BB6_20 Depth=2
	s_ashr_i32 s21, s20, 31
	s_mov_b32 s98, -1
	s_mov_b32 s56, 0
	s_mov_b64 s[54:55], s[20:21]
.LBB6_33:                               ;   in Loop: Header=BB6_20 Depth=2
	v_mov_b32_e32 v12, s3
	v_mov_b32_e32 v13, s52
	;; [unrolled: 1-line block ×7, first 2 shown]
	s_mov_b32 s2, s20
	s_and_b32 vcc_lo, exec_lo, s98
	s_cbranch_vccz .LBB6_35
.LBB6_34:                               ;   in Loop: Header=BB6_20 Depth=2
	v_mov_b32_e32 v1, s2
	ds_write_b32 v2, v1 offset:4
.LBB6_35:                               ;   in Loop: Header=BB6_20 Depth=2
	v_mov_b32_e32 v17, s50
	v_mov_b32_e32 v19, s54
	;; [unrolled: 1-line block ×5, first 2 shown]
	s_andn2_b32 vcc_lo, exec_lo, s56
	s_cbranch_vccnz .LBB6_37
; %bb.36:                               ;   in Loop: Header=BB6_20 Depth=2
	v_mov_b32_e32 v18, v16
	v_mov_b32_e32 v20, v12
	;; [unrolled: 1-line block ×5, first 2 shown]
	ds_write_b32 v2, v44 offset:4
	global_store_dword v[13:14], v2, off
.LBB6_37:                               ;   in Loop: Header=BB6_20 Depth=2
	v_lshlrev_b64 v[21:22], 2, v[19:20]
	v_lshlrev_b64 v[19:20], 2, v[17:18]
	v_mov_b32_e32 v23, s50
	s_mov_b32 s2, exec_lo
	v_add_co_u32 v17, vcc_lo, s28, v21
	v_add_co_ci_u32_e64 v18, null, s29, v22, vcc_lo
	v_add_co_u32 v21, vcc_lo, s28, v19
	v_add_co_ci_u32_e64 v22, null, s29, v20, vcc_lo
	s_clause 0x1
	global_load_dword v17, v[17:18], off
	global_load_dword v18, v[21:22], off
	v_mov_b32_e32 v21, s50
	v_add_nc_u32_e32 v22, 1, v1
	ds_write2_b32 v2, v21, v1 offset1:5
	ds_write_b32 v2, v1 offset:32
	ds_write2_b32 v2, v22, v23 offset0:3 offset1:4
	s_waitcnt vmcnt(0)
	v_cmpx_lt_f32_e64 |v17|, |v18|
; %bb.38:                               ;   in Loop: Header=BB6_20 Depth=2
	v_mov_b32_e32 v18, s50
	ds_write2_b32 v2, v1, v18 offset1:5
; %bb.39:                               ;   in Loop: Header=BB6_20 Depth=2
	s_or_b32 exec_lo, exec_lo, s2
	v_and_b32_e32 v21, 0x7fffffff, v17
	s_mov_b32 s3, exec_lo
	v_cmpx_lt_i32_e64 s50, v1
	s_cbranch_execz .LBB6_43
; %bb.40:                               ;   in Loop: Header=BB6_20 Depth=2
	v_add_co_u32 v17, vcc_lo, s91, v19
	v_add_co_ci_u32_e64 v18, null, s92, v20, vcc_lo
	v_add_co_u32 v19, vcc_lo, s87, v19
	v_add_co_ci_u32_e64 v20, null, s88, v20, vcc_lo
	s_mov_b32 s21, 0
	.p2align	6
.LBB6_41:                               ;   Parent Loop BB6_7 Depth=1
                                        ;     Parent Loop BB6_20 Depth=2
                                        ; =>    This Inner Loop Header: Depth=3
	global_load_dword v22, v[17:18], off
	global_load_dword v23, v[19:20], off
	s_add_i32 s50, s50, 1
	v_add_co_u32 v17, vcc_lo, v17, 4
	v_add_co_ci_u32_e64 v18, null, 0, v18, vcc_lo
	v_add_co_u32 v19, vcc_lo, v19, 4
	v_cmp_ge_i32_e64 s2, s50, v1
	v_add_co_ci_u32_e64 v20, null, 0, v20, vcc_lo
	s_or_b32 s21, s2, s21
	s_waitcnt vmcnt(0)
	v_max3_f32 v21, v21, |v22|, |v23|
	s_andn2_b32 exec_lo, exec_lo, s21
	s_cbranch_execnz .LBB6_41
; %bb.42:                               ;   in Loop: Header=BB6_20 Depth=2
	s_or_b32 exec_lo, exec_lo, s21
.LBB6_43:                               ;   in Loop: Header=BB6_20 Depth=2
	s_or_b32 exec_lo, exec_lo, s3
	ds_write_b32 v2, v21 offset:24
.LBB6_44:                               ;   in Loop: Header=BB6_20 Depth=2
	s_or_b32 exec_lo, exec_lo, s4
	s_waitcnt lgkmcnt(0)
	s_waitcnt_vscnt null, 0x0
	s_barrier
	buffer_gl0_inv
	ds_read2_b32 v[17:18], v2 offset0:5 offset1:6
	ds_read_b32 v1, v2
	s_waitcnt lgkmcnt(1)
	v_cmp_eq_f32_e64 s2, 0, v18
	s_waitcnt lgkmcnt(0)
	v_cmp_eq_u32_e32 vcc_lo, v17, v1
	s_or_b32 s2, vcc_lo, s2
	s_and_b32 vcc_lo, exec_lo, s2
	s_cbranch_vccnz .LBB6_19
; %bb.45:                               ;   in Loop: Header=BB6_20 Depth=2
	v_cmp_nlt_f32_e32 vcc_lo, s38, v18
	s_mov_b32 s2, -1
	s_cbranch_vccz .LBB6_54
; %bb.46:                               ;   in Loop: Header=BB6_20 Depth=2
	v_cmp_ngt_f32_e32 vcc_lo, s37, v18
	s_cbranch_vccnz .LBB6_53
; %bb.47:                               ;   in Loop: Header=BB6_20 Depth=2
	v_div_scale_f32 v1, null, s37, s37, v18
	v_div_scale_f32 v21, vcc_lo, v18, s37, v18
	v_rcp_f32_e32 v17, v1
	v_fma_f32 v19, -v1, v17, 1.0
	v_fmac_f32_e32 v17, v19, v17
	ds_read2_b32 v[19:20], v2 offset0:4 offset1:8
	v_mul_f32_e32 v22, v21, v17
	v_fma_f32 v23, -v1, v22, v21
	v_fmac_f32_e32 v22, v23, v17
	v_fma_f32 v1, -v1, v22, v21
	v_div_fmas_f32 v1, v1, v17, v22
	v_div_fixup_f32 v1, v1, s37, v18
	s_and_saveexec_b32 s2, s0
	s_cbranch_execz .LBB6_49
; %bb.48:                               ;   in Loop: Header=BB6_20 Depth=2
	s_waitcnt lgkmcnt(0)
	v_ashrrev_i32_e32 v22, 31, v20
	v_mov_b32_e32 v21, v20
	v_lshlrev_b64 v[21:22], 2, v[21:22]
	v_add_co_u32 v21, vcc_lo, s28, v21
	v_add_co_ci_u32_e64 v22, null, s29, v22, vcc_lo
	global_load_dword v17, v[21:22], off
	s_waitcnt vmcnt(0)
	v_mul_f32_e32 v17, v1, v17
	global_store_dword v[21:22], v17, off
.LBB6_49:                               ;   in Loop: Header=BB6_20 Depth=2
	s_or_b32 exec_lo, exec_lo, s2
	s_waitcnt lgkmcnt(0)
	v_add_nc_u32_e32 v21, v19, v0
	s_mov_b32 s3, exec_lo
	v_cmpx_lt_i32_e64 v21, v20
	s_cbranch_execz .LBB6_52
; %bb.50:                               ;   in Loop: Header=BB6_20 Depth=2
	v_ashrrev_i32_e32 v22, 31, v21
	s_mov_b32 s4, 0
	v_lshlrev_b64 v[22:23], 2, v[21:22]
	v_add_co_u32 v17, vcc_lo, s26, v22
	v_add_co_ci_u32_e64 v19, null, s27, v23, vcc_lo
	.p2align	6
.LBB6_51:                               ;   Parent Loop BB6_7 Depth=1
                                        ;     Parent Loop BB6_20 Depth=2
                                        ; =>    This Inner Loop Header: Depth=3
	v_add_co_u32 v22, vcc_lo, s39, v17
	v_add_co_ci_u32_e64 v23, null, s61, v19, vcc_lo
	v_add_co_u32 v24, vcc_lo, s62, v17
	v_add_nc_u32_e32 v21, s66, v21
	global_load_dword v25, v[22:23], off
	v_cmp_ge_i32_e64 s2, v21, v20
	s_or_b32 s4, s2, s4
	s_waitcnt vmcnt(0)
	v_mul_f32_e32 v26, v1, v25
	v_add_co_ci_u32_e64 v25, null, s63, v19, vcc_lo
	v_add_co_u32 v17, vcc_lo, v17, s72
	global_store_dword v[22:23], v26, off
	global_load_dword v22, v[24:25], off
	v_add_co_ci_u32_e64 v19, null, 0, v19, vcc_lo
	s_waitcnt vmcnt(0)
	v_mul_f32_e32 v22, v1, v22
	global_store_dword v[24:25], v22, off
	s_andn2_b32 exec_lo, exec_lo, s4
	s_cbranch_execnz .LBB6_51
.LBB6_52:                               ;   in Loop: Header=BB6_20 Depth=2
	s_or_b32 exec_lo, exec_lo, s3
.LBB6_53:                               ;   in Loop: Header=BB6_20 Depth=2
	s_mov_b32 s2, 0
.LBB6_54:                               ;   in Loop: Header=BB6_20 Depth=2
	s_andn2_b32 vcc_lo, exec_lo, s2
	s_cbranch_vccnz .LBB6_61
; %bb.55:                               ;   in Loop: Header=BB6_20 Depth=2
	v_div_scale_f32 v1, null, s38, s38, v18
	v_div_scale_f32 v21, vcc_lo, v18, s38, v18
	v_rcp_f32_e32 v17, v1
	v_fma_f32 v19, -v1, v17, 1.0
	v_fmac_f32_e32 v17, v19, v17
	ds_read2_b32 v[19:20], v2 offset0:4 offset1:8
	v_mul_f32_e32 v22, v21, v17
	v_fma_f32 v23, -v1, v22, v21
	v_fmac_f32_e32 v22, v23, v17
	v_fma_f32 v1, -v1, v22, v21
	v_div_fmas_f32 v1, v1, v17, v22
	v_div_fixup_f32 v1, v1, s38, v18
	s_and_saveexec_b32 s2, s0
	s_cbranch_execz .LBB6_57
; %bb.56:                               ;   in Loop: Header=BB6_20 Depth=2
	s_waitcnt lgkmcnt(0)
	v_ashrrev_i32_e32 v18, 31, v20
	v_mov_b32_e32 v17, v20
	v_lshlrev_b64 v[17:18], 2, v[17:18]
	v_add_co_u32 v17, vcc_lo, s28, v17
	v_add_co_ci_u32_e64 v18, null, s29, v18, vcc_lo
	global_load_dword v21, v[17:18], off
	s_waitcnt vmcnt(0)
	v_mul_f32_e32 v21, v1, v21
	global_store_dword v[17:18], v21, off
.LBB6_57:                               ;   in Loop: Header=BB6_20 Depth=2
	s_or_b32 exec_lo, exec_lo, s2
	s_waitcnt lgkmcnt(0)
	v_add_nc_u32_e32 v17, v19, v0
	s_mov_b32 s3, exec_lo
	v_cmpx_lt_i32_e64 v17, v20
	s_cbranch_execz .LBB6_60
; %bb.58:                               ;   in Loop: Header=BB6_20 Depth=2
	v_ashrrev_i32_e32 v18, 31, v17
	s_mov_b32 s4, 0
	v_lshlrev_b64 v[18:19], 2, v[17:18]
	v_add_co_u32 v18, vcc_lo, s26, v18
	v_add_co_ci_u32_e64 v19, null, s27, v19, vcc_lo
	.p2align	6
.LBB6_59:                               ;   Parent Loop BB6_7 Depth=1
                                        ;     Parent Loop BB6_20 Depth=2
                                        ; =>    This Inner Loop Header: Depth=3
	v_add_co_u32 v21, vcc_lo, s39, v18
	v_add_co_ci_u32_e64 v22, null, s61, v19, vcc_lo
	v_add_co_u32 v23, vcc_lo, s62, v18
	v_add_nc_u32_e32 v17, s66, v17
	global_load_dword v24, v[21:22], off
	v_cmp_ge_i32_e64 s2, v17, v20
	s_or_b32 s4, s2, s4
	s_waitcnt vmcnt(0)
	v_mul_f32_e32 v25, v1, v24
	v_add_co_ci_u32_e64 v24, null, s63, v19, vcc_lo
	v_add_co_u32 v18, vcc_lo, v18, s72
	global_store_dword v[21:22], v25, off
	global_load_dword v21, v[23:24], off
	v_add_co_ci_u32_e64 v19, null, 0, v19, vcc_lo
	s_waitcnt vmcnt(0)
	v_mul_f32_e32 v21, v1, v21
	global_store_dword v[23:24], v21, off
	s_andn2_b32 exec_lo, exec_lo, s4
	s_cbranch_execnz .LBB6_59
.LBB6_60:                               ;   in Loop: Header=BB6_20 Depth=2
	s_or_b32 exec_lo, exec_lo, s3
.LBB6_61:                               ;   in Loop: Header=BB6_20 Depth=2
	s_waitcnt_vscnt null, 0x0
	s_barrier
	buffer_gl0_inv
	ds_read_b32 v20, v2 offset:28
	ds_read2_b32 v[17:18], v2 offset1:5
	s_mov_b32 s4, -1
                                        ; implicit-def: $vgpr23_vgpr24
                                        ; implicit-def: $vgpr21_vgpr22
	s_waitcnt lgkmcnt(1)
	v_cmp_gt_i32_e64 s2, s11, v20
	s_waitcnt lgkmcnt(0)
	v_cmp_lt_i32_e32 vcc_lo, v18, v17
	v_mov_b32_e32 v19, v18
                                        ; implicit-def: $vgpr18
	v_cndmask_b32_e64 v1, 0, 1, s2
	v_cmp_ne_u32_e64 s3, 1, v1
	s_cbranch_vccnz .LBB6_64
; %bb.62:                               ;   in Loop: Header=BB6_20 Depth=2
	v_mov_b32_e32 v24, v8
	v_mov_b32_e32 v22, v6
	;; [unrolled: 1-line block ×8, first 2 shown]
	s_and_b32 vcc_lo, exec_lo, s3
	s_cbranch_vccz .LBB6_160
.LBB6_63:                               ;   in Loop: Header=BB6_20 Depth=2
	s_mov_b32 s4, 0
.LBB6_64:                               ;   in Loop: Header=BB6_20 Depth=2
	s_andn2_b32 vcc_lo, exec_lo, s4
	s_cbranch_vccz .LBB6_81
; %bb.65:                               ;   in Loop: Header=BB6_20 Depth=2
	v_mov_b32_e32 v5, v21
	v_mov_b32_e32 v7, v23
	;; [unrolled: 1-line block ×5, first 2 shown]
.LBB6_66:                               ;   in Loop: Header=BB6_20 Depth=2
	s_barrier
	buffer_gl0_inv
	ds_read_b32 v1, v2 offset:24
	s_waitcnt lgkmcnt(0)
	v_cmp_nlt_f32_e32 vcc_lo, s38, v1
	s_cbranch_vccnz .LBB6_73
; %bb.67:                               ;   in Loop: Header=BB6_20 Depth=2
	v_div_scale_f32 v19, null, v1, v1, s38
	v_div_scale_f32 v21, vcc_lo, s38, v1, s38
	v_rcp_f32_e32 v20, v19
	v_fma_f32 v17, -v19, v20, 1.0
	v_fmac_f32_e32 v20, v17, v20
	ds_read2_b32 v[17:18], v2 offset0:4 offset1:8
	v_mul_f32_e32 v22, v21, v20
	v_fma_f32 v23, -v19, v22, v21
	v_fmac_f32_e32 v22, v23, v20
	v_fma_f32 v19, -v19, v22, v21
	v_div_fmas_f32 v19, v19, v20, v22
	v_div_fixup_f32 v21, v19, v1, s38
	s_and_saveexec_b32 s2, s0
	s_cbranch_execz .LBB6_69
; %bb.68:                               ;   in Loop: Header=BB6_20 Depth=2
	s_waitcnt lgkmcnt(0)
	v_ashrrev_i32_e32 v20, 31, v18
	v_mov_b32_e32 v19, v18
	v_lshlrev_b64 v[19:20], 2, v[19:20]
	v_add_co_u32 v19, vcc_lo, s28, v19
	v_add_co_ci_u32_e64 v20, null, s29, v20, vcc_lo
	global_load_dword v22, v[19:20], off
	s_waitcnt vmcnt(0)
	v_mul_f32_e32 v22, v21, v22
	global_store_dword v[19:20], v22, off
.LBB6_69:                               ;   in Loop: Header=BB6_20 Depth=2
	s_or_b32 exec_lo, exec_lo, s2
	s_waitcnt lgkmcnt(0)
	v_add_nc_u32_e32 v19, v17, v0
	s_mov_b32 s3, exec_lo
	v_cmpx_lt_i32_e64 v19, v18
	s_cbranch_execz .LBB6_72
; %bb.70:                               ;   in Loop: Header=BB6_20 Depth=2
	v_ashrrev_i32_e32 v20, 31, v19
	s_mov_b32 s4, 0
	v_lshlrev_b64 v[22:23], 2, v[19:20]
	v_add_co_u32 v17, vcc_lo, s26, v22
	v_add_co_ci_u32_e64 v20, null, s27, v23, vcc_lo
	.p2align	6
.LBB6_71:                               ;   Parent Loop BB6_7 Depth=1
                                        ;     Parent Loop BB6_20 Depth=2
                                        ; =>    This Inner Loop Header: Depth=3
	v_add_co_u32 v22, vcc_lo, s39, v17
	v_add_co_ci_u32_e64 v23, null, s61, v20, vcc_lo
	v_add_co_u32 v24, vcc_lo, s62, v17
	v_add_nc_u32_e32 v19, s66, v19
	global_load_dword v25, v[22:23], off
	v_cmp_ge_i32_e64 s2, v19, v18
	s_or_b32 s4, s2, s4
	s_waitcnt vmcnt(0)
	v_mul_f32_e32 v26, v21, v25
	v_add_co_ci_u32_e64 v25, null, s63, v20, vcc_lo
	v_add_co_u32 v17, vcc_lo, v17, s72
	global_store_dword v[22:23], v26, off
	global_load_dword v22, v[24:25], off
	v_add_co_ci_u32_e64 v20, null, 0, v20, vcc_lo
	s_waitcnt vmcnt(0)
	v_mul_f32_e32 v22, v21, v22
	global_store_dword v[24:25], v22, off
	s_andn2_b32 exec_lo, exec_lo, s4
	s_cbranch_execnz .LBB6_71
.LBB6_72:                               ;   in Loop: Header=BB6_20 Depth=2
	s_or_b32 exec_lo, exec_lo, s3
.LBB6_73:                               ;   in Loop: Header=BB6_20 Depth=2
	v_cmp_ngt_f32_e32 vcc_lo, s37, v1
	s_cbranch_vccnz .LBB6_18
; %bb.74:                               ;   in Loop: Header=BB6_20 Depth=2
	v_div_scale_f32 v19, null, v1, v1, s37
	v_div_scale_f32 v21, vcc_lo, s37, v1, s37
	v_rcp_f32_e32 v20, v19
	v_fma_f32 v17, -v19, v20, 1.0
	v_fmac_f32_e32 v20, v17, v20
	ds_read2_b32 v[17:18], v2 offset0:4 offset1:8
	v_mul_f32_e32 v22, v21, v20
	v_fma_f32 v23, -v19, v22, v21
	v_fmac_f32_e32 v22, v23, v20
	v_fma_f32 v19, -v19, v22, v21
	v_div_fmas_f32 v19, v19, v20, v22
	v_div_fixup_f32 v1, v19, v1, s37
	s_and_saveexec_b32 s2, s0
	s_cbranch_execz .LBB6_76
; %bb.75:                               ;   in Loop: Header=BB6_20 Depth=2
	s_waitcnt lgkmcnt(0)
	v_ashrrev_i32_e32 v20, 31, v18
	v_mov_b32_e32 v19, v18
	v_lshlrev_b64 v[19:20], 2, v[19:20]
	v_add_co_u32 v19, vcc_lo, s28, v19
	v_add_co_ci_u32_e64 v20, null, s29, v20, vcc_lo
	global_load_dword v21, v[19:20], off
	s_waitcnt vmcnt(0)
	v_mul_f32_e32 v21, v1, v21
	global_store_dword v[19:20], v21, off
.LBB6_76:                               ;   in Loop: Header=BB6_20 Depth=2
	s_or_b32 exec_lo, exec_lo, s2
	s_waitcnt lgkmcnt(0)
	v_add_nc_u32_e32 v19, v17, v0
	s_mov_b32 s3, exec_lo
	v_cmpx_lt_i32_e64 v19, v18
	s_cbranch_execz .LBB6_17
; %bb.77:                               ;   in Loop: Header=BB6_20 Depth=2
	v_ashrrev_i32_e32 v20, 31, v19
	s_mov_b32 s4, 0
	v_lshlrev_b64 v[20:21], 2, v[19:20]
	v_add_co_u32 v17, vcc_lo, s26, v20
	v_add_co_ci_u32_e64 v20, null, s27, v21, vcc_lo
	.p2align	6
.LBB6_78:                               ;   Parent Loop BB6_7 Depth=1
                                        ;     Parent Loop BB6_20 Depth=2
                                        ; =>    This Inner Loop Header: Depth=3
	v_add_co_u32 v21, vcc_lo, s39, v17
	v_add_co_ci_u32_e64 v22, null, s61, v20, vcc_lo
	v_add_co_u32 v23, vcc_lo, s62, v17
	v_add_nc_u32_e32 v19, s66, v19
	global_load_dword v24, v[21:22], off
	v_cmp_ge_i32_e64 s2, v19, v18
	s_or_b32 s4, s2, s4
	s_waitcnt vmcnt(0)
	v_mul_f32_e32 v25, v1, v24
	v_add_co_ci_u32_e64 v24, null, s63, v20, vcc_lo
	v_add_co_u32 v17, vcc_lo, v17, s72
	global_store_dword v[21:22], v25, off
	global_load_dword v21, v[23:24], off
	v_add_co_ci_u32_e64 v20, null, 0, v20, vcc_lo
	s_waitcnt vmcnt(0)
	v_mul_f32_e32 v21, v1, v21
	global_store_dword v[23:24], v21, off
	s_andn2_b32 exec_lo, exec_lo, s4
	s_cbranch_execnz .LBB6_78
	s_branch .LBB6_17
.LBB6_79:                               ;   in Loop: Header=BB6_81 Depth=3
	s_or_b32 exec_lo, exec_lo, s4
	s_waitcnt_vscnt null, 0x0
	s_barrier
	buffer_gl0_inv
	ds_read_b32 v17, v2
.LBB6_80:                               ;   in Loop: Header=BB6_81 Depth=3
	ds_read2_b32 v[19:20], v2 offset0:5 offset1:7
	s_waitcnt lgkmcnt(0)
	v_cmp_ge_i32_e32 vcc_lo, v17, v19
	v_cmp_gt_i32_e64 s2, s11, v20
	s_and_b32 s2, vcc_lo, s2
.LBB6_81:                               ;   Parent Loop BB6_7 Depth=1
                                        ;     Parent Loop BB6_20 Depth=2
                                        ; =>    This Loop Header: Depth=3
                                        ;         Child Loop BB6_88 Depth 4
                                        ;         Child Loop BB6_108 Depth 4
                                        ;         Child Loop BB6_155 Depth 4
                                        ;           Child Loop BB6_156 Depth 5
	s_andn2_b32 vcc_lo, exec_lo, s2
	s_cbranch_vccnz .LBB6_66
; %bb.82:                               ;   in Loop: Header=BB6_81 Depth=3
	s_and_saveexec_b32 s4, s0
	s_cbranch_execz .LBB6_151
; %bb.83:                               ;   in Loop: Header=BB6_81 Depth=3
	v_cmp_gt_i32_e32 vcc_lo, v17, v19
	s_mov_b32 s2, 0
	s_cbranch_vccnz .LBB6_85
; %bb.84:                               ;   in Loop: Header=BB6_81 Depth=3
	v_ashrrev_i32_e32 v18, 31, v17
	s_mov_b32 s3, -1
	v_mov_b32_e32 v23, v18
	v_mov_b32_e32 v22, v17
	;; [unrolled: 1-line block ×3, first 2 shown]
	s_cbranch_execz .LBB6_86
	s_branch .LBB6_91
.LBB6_85:                               ;   in Loop: Header=BB6_81 Depth=3
	s_mov_b32 s3, 0
                                        ; implicit-def: $vgpr22_vgpr23
	v_mov_b32_e32 v21, v17
.LBB6_86:                               ;   in Loop: Header=BB6_81 Depth=3
	v_ashrrev_i32_e32 v18, 31, v17
	v_mov_b32_e32 v1, v17
	v_lshlrev_b64 v[9:10], 2, v[17:18]
	v_add_co_u32 v3, vcc_lo, s87, v9
	v_add_co_ci_u32_e64 v4, null, s88, v10, vcc_lo
	v_add_co_u32 v9, vcc_lo, s96, v9
	v_add_co_ci_u32_e64 v10, null, s97, v10, vcc_lo
	s_branch .LBB6_88
	.p2align	6
.LBB6_87:                               ;   in Loop: Header=BB6_88 Depth=4
	v_add_nc_u32_e32 v1, -1, v43
	v_add_co_u32 v9, vcc_lo, v9, -4
	v_add_co_ci_u32_e64 v10, null, -1, v10, vcc_lo
	v_cmp_le_i32_e64 s3, v1, v19
	s_mov_b32 s2, 0
	v_add_co_u32 v3, vcc_lo, v3, -4
	v_add_co_ci_u32_e64 v4, null, -1, v4, vcc_lo
	s_andn2_b32 vcc_lo, exec_lo, s3
	s_cbranch_vccz .LBB6_90
.LBB6_88:                               ;   Parent Loop BB6_7 Depth=1
                                        ;     Parent Loop BB6_20 Depth=2
                                        ;       Parent Loop BB6_81 Depth=3
                                        ; =>      This Inner Loop Header: Depth=4
	global_load_dwordx2 v[21:22], v[9:10], off
	global_load_dword v23, v[3:4], off offset:-4
	v_mov_b32_e32 v43, v1
	s_waitcnt vmcnt(1)
	v_mul_f32_e32 v21, v22, v21
	s_waitcnt vmcnt(0)
	v_mul_f32_e32 v22, v23, v23
	v_mul_f32_e64 v21, v39, |v21|
	v_cmp_le_f32_e64 s2, |v22|, v21
	s_and_b32 vcc_lo, exec_lo, s2
	s_cbranch_vccz .LBB6_87
; %bb.89:                               ;   in Loop: Header=BB6_81 Depth=3
	s_mov_b32 s2, -1
                                        ; implicit-def: $vgpr1
                                        ; implicit-def: $vgpr9_vgpr10
	v_add_co_u32 v3, vcc_lo, v3, -4
	v_add_co_ci_u32_e64 v4, null, -1, v4, vcc_lo
.LBB6_90:                               ;   in Loop: Header=BB6_81 Depth=3
	v_mov_b32_e32 v9, v17
	v_mov_b32_e32 v23, v18
	v_mov_b32_e32 v10, v18
	v_mov_b32_e32 v21, v19
	v_mov_b32_e32 v22, v17
	s_xor_b32 s3, s2, -1
	s_mov_b32 s2, -1
.LBB6_91:                               ;   in Loop: Header=BB6_81 Depth=3
	s_and_b32 vcc_lo, exec_lo, s3
	s_cbranch_vccnz .LBB6_120
; %bb.92:                               ;   in Loop: Header=BB6_81 Depth=3
	s_andn2_b32 vcc_lo, exec_lo, s2
	s_cbranch_vccnz .LBB6_94
.LBB6_93:                               ;   in Loop: Header=BB6_81 Depth=3
	v_mov_b32_e32 v23, v10
	v_mov_b32_e32 v22, v9
	;; [unrolled: 1-line block ×3, first 2 shown]
	ds_write2_b32 v2, v43, v17 offset0:1 offset1:4
	global_store_dword v[3:4], v2, off
.LBB6_94:                               ;   in Loop: Header=BB6_81 Depth=3
	v_lshlrev_b64 v[23:24], 2, v[22:23]
	v_add_nc_u32_e32 v1, -1, v17
	s_mov_b32 s2, exec_lo
	v_add_co_u32 v18, vcc_lo, s28, v23
	v_add_co_ci_u32_e64 v19, null, s29, v24, vcc_lo
	global_load_dword v29, v[18:19], off
	s_waitcnt vmcnt(0)
	ds_write_b32 v2, v29 offset:8
	v_cmpx_ne_u32_e64 v21, v17
	s_xor_b32 s21, exec_lo, s2
	s_cbranch_execz .LBB6_148
; %bb.95:                               ;   in Loop: Header=BB6_81 Depth=3
	s_mov_b32 s2, exec_lo
	v_cmpx_ne_u32_e64 v21, v1
	s_xor_b32 s3, exec_lo, s2
	s_cbranch_execz .LBB6_124
; %bb.96:                               ;   in Loop: Header=BB6_81 Depth=3
	v_add_co_u32 v23, vcc_lo, s83, v23
	v_add_co_ci_u32_e64 v24, null, s84, v24, vcc_lo
	v_ashrrev_i32_e32 v22, 31, v21
	s_mov_b32 s58, exec_lo
	global_load_dword v1, v[18:19], off offset:-4
	global_load_dword v31, v[23:24], off offset:-4
	v_lshlrev_b64 v[27:28], 2, v[21:22]
	v_add_co_u32 v25, vcc_lo, s28, v27
	v_add_co_ci_u32_e64 v26, null, s29, v28, vcc_lo
	global_load_dword v30, v[25:26], off
	s_waitcnt vmcnt(2)
	v_sub_f32_e32 v1, v1, v29
	s_waitcnt vmcnt(1)
	v_add_f32_e32 v22, v31, v31
	v_div_scale_f32 v32, null, v22, v22, v1
	v_div_scale_f32 v35, vcc_lo, v1, v22, v1
	v_rcp_f32_e32 v33, v32
	v_fma_f32 v34, -v32, v33, 1.0
	v_fmac_f32_e32 v33, v34, v33
	v_mul_f32_e32 v34, v35, v33
	v_fma_f32 v36, -v32, v34, v35
	v_fmac_f32_e32 v34, v36, v33
	v_fma_f32 v32, -v32, v34, v35
	v_div_fmas_f32 v32, v32, v33, v34
	v_div_fixup_f32 v1, v32, v22, v1
	v_fma_f32 v22, v1, v1, 1.0
	v_mul_f32_e32 v32, 0x4f800000, v22
	v_cmp_gt_f32_e32 vcc_lo, 0xf800000, v22
	v_cndmask_b32_e32 v22, v22, v32, vcc_lo
	v_sqrt_f32_e32 v32, v22
	v_add_nc_u32_e32 v33, -1, v32
	v_add_nc_u32_e32 v34, 1, v32
	v_fma_f32 v35, -v33, v32, v22
	v_fma_f32 v36, -v34, v32, v22
	v_cmp_ge_f32_e64 s2, 0, v35
	v_cndmask_b32_e64 v32, v32, v33, s2
	v_cmp_lt_f32_e64 s2, 0, v36
	v_cndmask_b32_e64 v32, v32, v34, s2
	v_mul_f32_e32 v33, 0x37800000, v32
	v_cndmask_b32_e32 v32, v32, v33, vcc_lo
	v_cmp_class_f32_e64 vcc_lo, v22, 0x260
	v_cndmask_b32_e32 v22, v32, v22, vcc_lo
	v_cmp_nle_f32_e32 vcc_lo, 0, v1
	v_cndmask_b32_e64 v22, |v22|, -|v22|, vcc_lo
	v_add_f32_e32 v1, v1, v22
	v_div_scale_f32 v22, null, v1, v1, v31
	v_div_scale_f32 v34, vcc_lo, v31, v1, v31
	v_rcp_f32_e32 v32, v22
	v_fma_f32 v33, -v22, v32, 1.0
	v_fmac_f32_e32 v32, v33, v32
	v_mul_f32_e32 v33, v34, v32
	v_fma_f32 v35, -v22, v33, v34
	v_fmac_f32_e32 v33, v35, v32
	v_fma_f32 v22, -v22, v33, v34
	v_div_fmas_f32 v22, v22, v32, v33
	s_waitcnt vmcnt(0)
	v_sub_f32_e32 v32, v30, v29
	v_div_fixup_f32 v1, v22, v1, v31
	v_add_nc_u32_e32 v31, 1, v20
	v_mov_b32_e32 v22, 0
	v_add_f32_e32 v20, v32, v1
	ds_write2_b32 v2, v2, v31 offset0:2 offset1:7
	v_cmpx_lt_i32_e64 v21, v17
	s_cbranch_execz .LBB6_123
; %bb.97:                               ;   in Loop: Header=BB6_81 Depth=3
	v_add_co_u32 v31, vcc_lo, s83, v27
	v_add_co_ci_u32_e64 v32, null, s84, v28, vcc_lo
	v_mov_b32_e32 v33, 0
	v_mov_b32_e32 v1, 1.0
	s_mov_b32 s50, exec_lo
	global_load_dword v31, v[31:32], off
	s_waitcnt vmcnt(0)
	v_cmpx_neq_f32_e32 0, v31
	s_cbranch_execz .LBB6_105
; %bb.98:                               ;   in Loop: Header=BB6_81 Depth=3
	v_mov_b32_e32 v1, 0
	v_mov_b32_e32 v33, 1.0
	s_mov_b32 s51, exec_lo
	v_cmpx_neq_f32_e32 0, v20
	s_cbranch_execz .LBB6_104
; %bb.99:                               ;   in Loop: Header=BB6_81 Depth=3
	s_mov_b32 s52, exec_lo
                                        ; implicit-def: $vgpr33
                                        ; implicit-def: $vgpr1
	v_cmpx_ngt_f32_e64 |v31|, |v20|
	s_xor_b32 s52, exec_lo, s52
	s_cbranch_execz .LBB6_101
; %bb.100:                              ;   in Loop: Header=BB6_81 Depth=3
	v_div_scale_f32 v1, null, v20, v20, -v31
	v_div_scale_f32 v32, vcc_lo, -v31, v20, -v31
	v_rcp_f32_e32 v22, v1
	v_fma_f32 v29, -v1, v22, 1.0
	v_fmac_f32_e32 v22, v29, v22
	v_mul_f32_e32 v29, v32, v22
	v_fma_f32 v33, -v1, v29, v32
	v_fmac_f32_e32 v29, v33, v22
	v_fma_f32 v1, -v1, v29, v32
	v_div_fmas_f32 v1, v1, v22, v29
	v_div_fixup_f32 v20, v1, v20, -v31
	v_fma_f32 v1, v20, v20, 1.0
	v_mul_f32_e32 v22, 0x4f800000, v1
	v_cmp_gt_f32_e32 vcc_lo, 0xf800000, v1
	v_cndmask_b32_e32 v1, v1, v22, vcc_lo
	v_sqrt_f32_e32 v22, v1
	v_add_nc_u32_e32 v29, -1, v22
	v_add_nc_u32_e32 v32, 1, v22
	v_fma_f32 v33, -v29, v22, v1
	v_fma_f32 v34, -v32, v22, v1
	v_cmp_ge_f32_e64 s2, 0, v33
	v_cndmask_b32_e64 v22, v22, v29, s2
	v_cmp_lt_f32_e64 s2, 0, v34
	v_cndmask_b32_e64 v22, v22, v32, s2
	v_mul_f32_e32 v29, 0x37800000, v22
	v_cndmask_b32_e32 v22, v22, v29, vcc_lo
	v_cmp_class_f32_e64 vcc_lo, v1, 0x260
	v_cndmask_b32_e32 v1, v22, v1, vcc_lo
	v_div_scale_f32 v22, null, v1, v1, 1.0
	v_rcp_f32_e32 v29, v22
	v_fma_f32 v32, -v22, v29, 1.0
	v_fmac_f32_e32 v29, v32, v29
	v_div_scale_f32 v32, vcc_lo, 1.0, v1, 1.0
	v_mul_f32_e32 v33, v32, v29
	v_fma_f32 v34, -v22, v33, v32
	v_fmac_f32_e32 v33, v34, v29
	v_fma_f32 v22, -v22, v33, v32
	v_div_fmas_f32 v22, v22, v29, v33
	v_div_fixup_f32 v1, v22, v1, 1.0
	v_mul_f32_e32 v33, v20, v1
                                        ; implicit-def: $vgpr20
.LBB6_101:                              ;   in Loop: Header=BB6_81 Depth=3
	s_andn2_saveexec_b32 s52, s52
	s_cbranch_execz .LBB6_103
; %bb.102:                              ;   in Loop: Header=BB6_81 Depth=3
	v_div_scale_f32 v1, null, v31, v31, -v20
	v_div_scale_f32 v32, vcc_lo, -v20, v31, -v20
	v_rcp_f32_e32 v22, v1
	v_fma_f32 v29, -v1, v22, 1.0
	v_fmac_f32_e32 v22, v29, v22
	v_mul_f32_e32 v29, v32, v22
	v_fma_f32 v33, -v1, v29, v32
	v_fmac_f32_e32 v29, v33, v22
	v_fma_f32 v1, -v1, v29, v32
	v_div_fmas_f32 v1, v1, v22, v29
	v_div_fixup_f32 v1, v1, v31, -v20
	v_fma_f32 v20, v1, v1, 1.0
	v_mul_f32_e32 v22, 0x4f800000, v20
	v_cmp_gt_f32_e32 vcc_lo, 0xf800000, v20
	v_cndmask_b32_e32 v20, v20, v22, vcc_lo
	v_sqrt_f32_e32 v22, v20
	v_add_nc_u32_e32 v29, -1, v22
	v_add_nc_u32_e32 v32, 1, v22
	v_fma_f32 v33, -v29, v22, v20
	v_fma_f32 v34, -v32, v22, v20
	v_cmp_ge_f32_e64 s2, 0, v33
	v_cndmask_b32_e64 v22, v22, v29, s2
	v_cmp_lt_f32_e64 s2, 0, v34
	v_cndmask_b32_e64 v22, v22, v32, s2
	v_mul_f32_e32 v29, 0x37800000, v22
	v_cndmask_b32_e32 v22, v22, v29, vcc_lo
	v_cmp_class_f32_e64 vcc_lo, v20, 0x260
	v_cndmask_b32_e32 v20, v22, v20, vcc_lo
	v_div_scale_f32 v22, null, v20, v20, 1.0
	v_rcp_f32_e32 v29, v22
	v_fma_f32 v32, -v22, v29, 1.0
	v_fmac_f32_e32 v29, v32, v29
	v_div_scale_f32 v32, vcc_lo, 1.0, v20, 1.0
	v_mul_f32_e32 v33, v32, v29
	v_fma_f32 v34, -v22, v33, v32
	v_fmac_f32_e32 v33, v34, v29
	v_fma_f32 v22, -v22, v33, v32
	v_div_fmas_f32 v22, v22, v29, v33
	v_div_fixup_f32 v33, v22, v20, 1.0
	v_mul_f32_e32 v1, v1, v33
.LBB6_103:                              ;   in Loop: Header=BB6_81 Depth=3
	s_or_b32 exec_lo, exec_lo, s52
.LBB6_104:                              ;   in Loop: Header=BB6_81 Depth=3
	s_or_b32 exec_lo, exec_lo, s51
.LBB6_105:                              ;   in Loop: Header=BB6_81 Depth=3
	s_or_b32 exec_lo, exec_lo, s50
	global_load_dword v20, v[25:26], off offset:4
	v_add_f32_e32 v22, v1, v1
	v_add_co_u32 v27, vcc_lo, s34, v27
	v_add_co_ci_u32_e64 v28, null, s35, v28, vcc_lo
	v_xor_b32_e32 v32, 0x80000000, v33
	v_add_nc_u32_e32 v29, 1, v21
	s_mov_b32 s59, exec_lo
	s_waitcnt vmcnt(0)
	v_sub_f32_e32 v20, v20, v30
	v_mul_f32_e32 v20, v33, v20
	v_fma_f32 v20, v31, v22, -v20
	v_mul_f32_e64 v22, v20, -v33
	v_fma_f32 v30, v20, -v33, v30
	v_add_co_u32 v33, vcc_lo, v27, s40
	v_fma_f32 v20, v1, v20, -v31
	v_add_co_ci_u32_e64 v34, null, s41, v28, vcc_lo
	ds_write_b32 v2, v22 offset:8
	global_store_dword v[25:26], v30, off
	global_store_dword v[27:28], v1, off
	global_store_dword v[33:34], v32, off offset:-4
	v_cmpx_lt_i32_e64 v29, v17
	s_cbranch_execz .LBB6_122
; %bb.106:                              ;   in Loop: Header=BB6_81 Depth=3
	v_ashrrev_i32_e32 v30, 31, v29
	s_mov_b32 s98, 1
	s_mov_b32 s99, 0
	s_mov_b64 s[50:51], s[28:29]
	s_mov_b64 s[52:53], s[48:49]
	v_lshlrev_b64 v[25:26], 2, v[29:30]
	s_mov_b64 s[54:55], s[46:47]
	s_mov_b64 s[56:57], s[34:35]
	s_branch .LBB6_108
.LBB6_107:                              ;   in Loop: Header=BB6_108 Depth=4
	v_add_co_u32 v27, vcc_lo, s50, v25
	v_add_co_ci_u32_e64 v28, null, s51, v26, vcc_lo
	v_mul_f32_e32 v20, v1, v29
	v_add_f32_e32 v29, v30, v30
	s_add_i32 s98, s98, 1
	global_load_dwordx2 v[33:34], v[27:28], off
	v_add_nc_u32_e32 v48, s98, v21
	v_add_co_u32 v35, vcc_lo, s56, v25
	s_add_u32 s56, s56, 4
	v_add_co_ci_u32_e64 v36, null, s57, v26, vcc_lo
	s_addc_u32 s57, s57, 0
	s_add_u32 s54, s54, 4
	s_addc_u32 s55, s55, 0
	v_xor_b32_e32 v32, 0x80000000, v31
	v_mov_b32_e32 v1, v30
	s_waitcnt vmcnt(0)
	v_sub_f32_e32 v22, v33, v22
	v_add_co_u32 v33, vcc_lo, s52, v25
	s_add_u32 s52, s52, 4
	v_sub_f32_e32 v47, v34, v22
	v_add_co_ci_u32_e64 v34, null, s53, v26, vcc_lo
	v_cmp_ge_i32_e32 vcc_lo, v48, v17
	s_addc_u32 s53, s53, 0
	v_mul_f32_e32 v47, v31, v47
	s_add_u32 s50, s50, 4
	s_addc_u32 s51, s51, 0
	s_or_b32 s99, vcc_lo, s99
	v_fma_f32 v29, v20, v29, -v47
	v_fma_f32 v47, v29, -v31, v22
	v_mul_f32_e64 v22, v29, -v31
	v_fma_f32 v20, v30, v29, -v20
	global_store_dword v[27:28], v47, off
	global_store_dword v[35:36], v30, off
	;; [unrolled: 1-line block ×3, first 2 shown]
	s_andn2_b32 exec_lo, exec_lo, s99
	s_cbranch_execz .LBB6_121
.LBB6_108:                              ;   Parent Loop BB6_7 Depth=1
                                        ;     Parent Loop BB6_20 Depth=2
                                        ;       Parent Loop BB6_81 Depth=3
                                        ; =>      This Inner Loop Header: Depth=4
	v_add_co_u32 v27, vcc_lo, s54, v25
	v_add_co_ci_u32_e64 v28, null, s55, v26, vcc_lo
	v_mov_b32_e32 v31, 0
	v_mov_b32_e32 v30, 1.0
	s_mov_b32 s104, exec_lo
	global_load_dword v29, v[27:28], off offset:4
	s_waitcnt vmcnt(0)
	v_mul_f32_e32 v32, v32, v29
	v_cmpx_neq_f32_e32 0, v32
	s_cbranch_execz .LBB6_118
; %bb.109:                              ;   in Loop: Header=BB6_108 Depth=4
	v_xor_b32_e32 v33, 0x80000000, v32
                                        ; implicit-def: $vgpr31
                                        ; implicit-def: $vgpr30
	s_mov_b32 s2, exec_lo
	v_cmpx_neq_f32_e32 0, v20
	s_xor_b32 s70, exec_lo, s2
	s_cbranch_execz .LBB6_115
; %bb.110:                              ;   in Loop: Header=BB6_108 Depth=4
	s_mov_b32 s71, exec_lo
                                        ; implicit-def: $vgpr31
                                        ; implicit-def: $vgpr30
	v_cmpx_ngt_f32_e64 |v32|, |v20|
	s_xor_b32 s71, exec_lo, s71
	s_cbranch_execz .LBB6_112
; %bb.111:                              ;   in Loop: Header=BB6_108 Depth=4
	v_div_scale_f32 v30, null, v20, v20, -v32
	v_div_scale_f32 v34, vcc_lo, -v32, v20, -v32
	v_rcp_f32_e32 v31, v30
	v_fma_f32 v33, -v30, v31, 1.0
	v_fmac_f32_e32 v31, v33, v31
	v_mul_f32_e32 v33, v34, v31
	v_fma_f32 v35, -v30, v33, v34
	v_fmac_f32_e32 v33, v35, v31
	v_fma_f32 v30, -v30, v33, v34
	v_div_fmas_f32 v30, v30, v31, v33
	v_div_fixup_f32 v31, v30, v20, -v32
	v_fma_f32 v30, v31, v31, 1.0
	v_mul_f32_e32 v33, 0x4f800000, v30
	v_cmp_gt_f32_e32 vcc_lo, 0xf800000, v30
	v_cndmask_b32_e32 v30, v30, v33, vcc_lo
	v_sqrt_f32_e32 v33, v30
	v_add_nc_u32_e32 v34, -1, v33
	v_add_nc_u32_e32 v35, 1, v33
	v_fma_f32 v36, -v34, v33, v30
	v_fma_f32 v47, -v35, v33, v30
	v_cmp_ge_f32_e64 s2, 0, v36
	v_cndmask_b32_e64 v33, v33, v34, s2
	v_cmp_lt_f32_e64 s2, 0, v47
	v_cndmask_b32_e64 v33, v33, v35, s2
	v_mul_f32_e32 v34, 0x37800000, v33
	v_cndmask_b32_e32 v33, v33, v34, vcc_lo
	v_cmp_class_f32_e64 vcc_lo, v30, 0x260
	v_cndmask_b32_e32 v30, v33, v30, vcc_lo
	v_div_scale_f32 v33, null, v30, v30, 1.0
	v_rcp_f32_e32 v34, v33
	v_fma_f32 v35, -v33, v34, 1.0
	v_fmac_f32_e32 v34, v35, v34
	v_div_scale_f32 v35, vcc_lo, 1.0, v30, 1.0
	v_mul_f32_e32 v36, v35, v34
	v_fma_f32 v47, -v33, v36, v35
	v_fmac_f32_e32 v36, v47, v34
	v_fma_f32 v33, -v33, v36, v35
	v_div_fmas_f32 v33, v33, v34, v36
	v_div_fixup_f32 v30, v33, v30, 1.0
	v_mul_f32_e32 v31, v31, v30
.LBB6_112:                              ;   in Loop: Header=BB6_108 Depth=4
	s_andn2_saveexec_b32 s71, s71
	s_cbranch_execz .LBB6_114
; %bb.113:                              ;   in Loop: Header=BB6_108 Depth=4
	v_div_scale_f32 v30, null, v32, v32, -v20
	v_div_scale_f32 v34, vcc_lo, -v20, v32, -v20
	v_rcp_f32_e32 v31, v30
	v_fma_f32 v33, -v30, v31, 1.0
	v_fmac_f32_e32 v31, v33, v31
	v_mul_f32_e32 v33, v34, v31
	v_fma_f32 v35, -v30, v33, v34
	v_fmac_f32_e32 v33, v35, v31
	v_fma_f32 v30, -v30, v33, v34
	v_div_fmas_f32 v30, v30, v31, v33
	v_div_fixup_f32 v30, v30, v32, -v20
	v_fma_f32 v31, v30, v30, 1.0
	v_mul_f32_e32 v33, 0x4f800000, v31
	v_cmp_gt_f32_e32 vcc_lo, 0xf800000, v31
	v_cndmask_b32_e32 v31, v31, v33, vcc_lo
	v_sqrt_f32_e32 v33, v31
	v_add_nc_u32_e32 v34, -1, v33
	v_add_nc_u32_e32 v35, 1, v33
	v_fma_f32 v36, -v34, v33, v31
	v_fma_f32 v47, -v35, v33, v31
	v_cmp_ge_f32_e64 s2, 0, v36
	v_cndmask_b32_e64 v33, v33, v34, s2
	v_cmp_lt_f32_e64 s2, 0, v47
	v_cndmask_b32_e64 v33, v33, v35, s2
	v_mul_f32_e32 v34, 0x37800000, v33
	v_cndmask_b32_e32 v33, v33, v34, vcc_lo
	v_cmp_class_f32_e64 vcc_lo, v31, 0x260
	v_cndmask_b32_e32 v31, v33, v31, vcc_lo
	v_div_scale_f32 v33, null, v31, v31, 1.0
	v_rcp_f32_e32 v34, v33
	v_fma_f32 v35, -v33, v34, 1.0
	v_fmac_f32_e32 v34, v35, v34
	v_div_scale_f32 v35, vcc_lo, 1.0, v31, 1.0
	v_mul_f32_e32 v36, v35, v34
	v_fma_f32 v47, -v33, v36, v35
	v_fmac_f32_e32 v36, v47, v34
	v_fma_f32 v33, -v33, v36, v35
	v_div_fmas_f32 v33, v33, v34, v36
	v_div_fixup_f32 v31, v33, v31, 1.0
	v_mul_f32_e32 v30, v30, v31
.LBB6_114:                              ;   in Loop: Header=BB6_108 Depth=4
	s_or_b32 exec_lo, exec_lo, s71
	v_mul_f32_e32 v32, v32, v31
	v_fma_f32 v33, v20, v30, -v32
.LBB6_115:                              ;   in Loop: Header=BB6_108 Depth=4
	s_andn2_saveexec_b32 s2, s70
; %bb.116:                              ;   in Loop: Header=BB6_108 Depth=4
	v_mov_b32_e32 v30, 0
	v_mov_b32_e32 v31, 1.0
; %bb.117:                              ;   in Loop: Header=BB6_108 Depth=4
	s_or_b32 exec_lo, exec_lo, s2
	v_mov_b32_e32 v20, v33
.LBB6_118:                              ;   in Loop: Header=BB6_108 Depth=4
	s_or_b32 exec_lo, exec_lo, s104
	s_cmp_eq_u32 s98, 0
	s_cbranch_scc1 .LBB6_107
; %bb.119:                              ;   in Loop: Header=BB6_108 Depth=4
	global_store_dword v[27:28], v20, off
	s_branch .LBB6_107
.LBB6_120:                              ;   in Loop: Header=BB6_81 Depth=3
	ds_write2_b32 v2, v21, v17 offset0:1 offset1:4
	s_cbranch_execz .LBB6_93
	s_branch .LBB6_94
.LBB6_121:                              ;   in Loop: Header=BB6_81 Depth=3
	s_or_b32 exec_lo, exec_lo, s99
	ds_write_b32 v2, v22 offset:8
.LBB6_122:                              ;   in Loop: Header=BB6_81 Depth=3
	s_or_b32 exec_lo, exec_lo, s59
	global_load_dword v29, v[18:19], off
.LBB6_123:                              ;   in Loop: Header=BB6_81 Depth=3
	s_or_b32 exec_lo, exec_lo, s58
	s_waitcnt vmcnt(0)
	v_sub_f32_e32 v1, v29, v22
                                        ; implicit-def: $vgpr17
                                        ; implicit-def: $vgpr29
                                        ; implicit-def: $vgpr21
	global_store_dword v[18:19], v1, off
	global_store_dword v[23:24], v20, off offset:-4
                                        ; implicit-def: $vgpr18_vgpr19
                                        ; implicit-def: $vgpr23_vgpr24
.LBB6_124:                              ;   in Loop: Header=BB6_81 Depth=3
	s_andn2_saveexec_b32 s50, s3
	s_cbranch_execz .LBB6_157
; %bb.125:                              ;   in Loop: Header=BB6_81 Depth=3
	v_ashrrev_i32_e32 v22, 31, v21
	s_mov_b32 s3, exec_lo
                                        ; implicit-def: $vgpr27
	v_lshlrev_b64 v[20:21], 2, v[21:22]
	v_add_co_u32 v25, vcc_lo, s83, v20
	v_add_co_ci_u32_e64 v26, null, s84, v21, vcc_lo
	v_add_co_u32 v30, vcc_lo, s28, v20
	v_add_co_ci_u32_e64 v31, null, s29, v21, vcc_lo
	global_load_dword v28, v[25:26], off
	global_load_dword v25, v[30:31], off
	s_waitcnt vmcnt(1)
	v_add_f32_e32 v1, v28, v28
	s_waitcnt vmcnt(0)
	v_sub_f32_e32 v22, v25, v29
	v_and_b32_e32 v26, 0x7fffffff, v1
	v_cmpx_ngt_f32_e64 |v22|, |v1|
	s_xor_b32 s3, exec_lo, s3
	s_cbranch_execz .LBB6_131
; %bb.126:                              ;   in Loop: Header=BB6_81 Depth=3
	v_cmp_nlt_f32_e64 s2, |v22|, |v1|
                                        ; implicit-def: $vgpr27
	s_and_saveexec_b32 s51, s2
	s_xor_b32 s2, exec_lo, s51
	s_cbranch_execz .LBB6_128
; %bb.127:                              ;   in Loop: Header=BB6_81 Depth=3
	v_cvt_f64_f32_e32 v[26:27], v26
	v_mul_f64 v[26:27], v[26:27], s[18:19]
	v_cvt_f32_f64_e32 v27, v[26:27]
                                        ; implicit-def: $vgpr26
.LBB6_128:                              ;   in Loop: Header=BB6_81 Depth=3
	s_andn2_saveexec_b32 s51, s2
	s_cbranch_execz .LBB6_130
; %bb.129:                              ;   in Loop: Header=BB6_81 Depth=3
	v_and_b32_e32 v27, 0x7fffffff, v22
	v_div_scale_f32 v30, null, v26, v26, v27
	v_div_scale_f32 v26, vcc_lo, v27, v26, v27
	v_rcp_f32_e32 v31, v30
	v_fma_f32 v32, -v30, v31, 1.0
	v_fmac_f32_e32 v31, v32, v31
	v_mul_f32_e32 v27, v26, v31
	v_fma_f32 v32, -v30, v27, v26
	v_fmac_f32_e32 v27, v32, v31
	v_fma_f32 v26, -v30, v27, v26
	v_div_fmas_f32 v26, v26, v31, v27
	v_div_fixup_f32 v26, v26, |v1|, |v22|
	v_fma_f32 v26, v26, v26, 1.0
	v_mul_f32_e32 v27, 0x4f800000, v26
	v_cmp_gt_f32_e32 vcc_lo, 0xf800000, v26
	v_cndmask_b32_e32 v26, v26, v27, vcc_lo
	v_sqrt_f32_e32 v27, v26
	v_add_nc_u32_e32 v30, -1, v27
	v_add_nc_u32_e32 v31, 1, v27
	v_fma_f32 v32, -v30, v27, v26
	v_fma_f32 v33, -v31, v27, v26
	v_cmp_ge_f32_e64 s2, 0, v32
	v_cndmask_b32_e64 v27, v27, v30, s2
	v_cmp_lt_f32_e64 s2, 0, v33
	v_cndmask_b32_e64 v27, v27, v31, s2
	v_mul_f32_e32 v30, 0x37800000, v27
	v_cndmask_b32_e32 v27, v27, v30, vcc_lo
	v_cmp_class_f32_e64 vcc_lo, v26, 0x260
	v_cndmask_b32_e32 v26, v27, v26, vcc_lo
	v_mul_f32_e64 v27, |v1|, v26
.LBB6_130:                              ;   in Loop: Header=BB6_81 Depth=3
	s_or_b32 exec_lo, exec_lo, s51
                                        ; implicit-def: $vgpr26
.LBB6_131:                              ;   in Loop: Header=BB6_81 Depth=3
	s_andn2_saveexec_b32 s3, s3
	s_cbranch_execz .LBB6_133
; %bb.132:                              ;   in Loop: Header=BB6_81 Depth=3
	v_and_b32_e32 v27, 0x7fffffff, v22
	v_div_scale_f32 v30, null, v27, v27, v26
	v_div_scale_f32 v26, vcc_lo, v26, v27, v26
	v_rcp_f32_e32 v31, v30
	v_fma_f32 v32, -v30, v31, 1.0
	v_fmac_f32_e32 v31, v32, v31
	v_mul_f32_e32 v27, v26, v31
	v_fma_f32 v32, -v30, v27, v26
	v_fmac_f32_e32 v27, v32, v31
	v_fma_f32 v26, -v30, v27, v26
	v_div_fmas_f32 v26, v26, v31, v27
	v_div_fixup_f32 v26, v26, |v22|, |v1|
	v_fma_f32 v26, v26, v26, 1.0
	v_mul_f32_e32 v27, 0x4f800000, v26
	v_cmp_gt_f32_e32 vcc_lo, 0xf800000, v26
	v_cndmask_b32_e32 v26, v26, v27, vcc_lo
	v_sqrt_f32_e32 v27, v26
	v_add_nc_u32_e32 v30, -1, v27
	v_add_nc_u32_e32 v31, 1, v27
	v_fma_f32 v32, -v30, v27, v26
	v_fma_f32 v33, -v31, v27, v26
	v_cmp_ge_f32_e64 s2, 0, v32
	v_cndmask_b32_e64 v27, v27, v30, s2
	v_cmp_lt_f32_e64 s2, 0, v33
	v_cndmask_b32_e64 v27, v27, v31, s2
	v_mul_f32_e32 v30, 0x37800000, v27
	v_cndmask_b32_e32 v27, v27, v30, vcc_lo
	v_cmp_class_f32_e64 vcc_lo, v26, 0x260
	v_cndmask_b32_e32 v26, v27, v26, vcc_lo
	v_mul_f32_e64 v27, |v22|, v26
.LBB6_133:                              ;   in Loop: Header=BB6_81 Depth=3
	s_or_b32 exec_lo, exec_lo, s3
	v_cmp_gt_f32_e64 vcc_lo, |v25|, |v29|
	v_add_f32_e32 v31, v29, v25
	s_mov_b32 s2, exec_lo
	v_cndmask_b32_e32 v30, v25, v29, vcc_lo
	v_cndmask_b32_e32 v32, v29, v25, vcc_lo
                                        ; implicit-def: $vgpr26
	v_cmpx_ngt_f32_e32 0, v31
	s_xor_b32 s3, exec_lo, s2
	s_cbranch_execz .LBB6_139
; %bb.134:                              ;   in Loop: Header=BB6_81 Depth=3
	s_mov_b32 s2, exec_lo
                                        ; implicit-def: $vgpr26
	v_cmpx_nlt_f32_e32 0, v31
	s_xor_b32 s2, exec_lo, s2
; %bb.135:                              ;   in Loop: Header=BB6_81 Depth=3
	v_mul_f32_e32 v25, 0.5, v27
	v_mul_f32_e32 v26, -0.5, v27
                                        ; implicit-def: $vgpr31
                                        ; implicit-def: $vgpr32
                                        ; implicit-def: $vgpr30
                                        ; implicit-def: $vgpr28
; %bb.136:                              ;   in Loop: Header=BB6_81 Depth=3
	s_andn2_saveexec_b32 s51, s2
	s_cbranch_execz .LBB6_138
; %bb.137:                              ;   in Loop: Header=BB6_81 Depth=3
	v_add_f32_e32 v25, v31, v27
	v_cvt_f64_f32_e32 v[31:32], v32
	v_cvt_f64_f32_e32 v[28:29], v28
	v_mul_f32_e32 v25, 0.5, v25
	v_cvt_f64_f32_e32 v[33:34], v25
	v_div_scale_f64 v[35:36], null, v[33:34], v[33:34], v[31:32]
	v_div_scale_f64 v[47:48], null, v[33:34], v[33:34], v[28:29]
	v_div_scale_f64 v[57:58], vcc_lo, v[31:32], v[33:34], v[31:32]
	v_rcp_f64_e32 v[49:50], v[35:36]
	v_rcp_f64_e32 v[51:52], v[47:48]
	v_fma_f64 v[53:54], -v[35:36], v[49:50], 1.0
	v_fma_f64 v[55:56], -v[47:48], v[51:52], 1.0
	v_fma_f64 v[49:50], v[49:50], v[53:54], v[49:50]
	v_fma_f64 v[51:52], v[51:52], v[55:56], v[51:52]
	v_fma_f64 v[53:54], -v[35:36], v[49:50], 1.0
	v_fma_f64 v[55:56], -v[47:48], v[51:52], 1.0
	v_fma_f64 v[49:50], v[49:50], v[53:54], v[49:50]
	v_div_scale_f64 v[53:54], s2, v[28:29], v[33:34], v[28:29]
	v_fma_f64 v[51:52], v[51:52], v[55:56], v[51:52]
	v_mul_f64 v[55:56], v[57:58], v[49:50]
	v_mul_f64 v[59:60], v[53:54], v[51:52]
	v_fma_f64 v[35:36], -v[35:36], v[55:56], v[57:58]
	v_fma_f64 v[47:48], -v[47:48], v[59:60], v[53:54]
	v_div_fmas_f64 v[35:36], v[35:36], v[49:50], v[55:56]
	s_mov_b32 vcc_lo, s2
	v_div_fmas_f64 v[47:48], v[47:48], v[51:52], v[59:60]
	v_div_fixup_f64 v[31:32], v[35:36], v[33:34], v[31:32]
	v_div_fixup_f64 v[47:48], v[47:48], v[33:34], v[28:29]
	v_cvt_f64_f32_e32 v[33:34], v30
	v_mul_f64 v[28:29], v[47:48], v[28:29]
	v_fma_f64 v[28:29], v[31:32], v[33:34], -v[28:29]
	v_cvt_f32_f64_e32 v26, v[28:29]
.LBB6_138:                              ;   in Loop: Header=BB6_81 Depth=3
	s_or_b32 exec_lo, exec_lo, s51
                                        ; implicit-def: $vgpr31
                                        ; implicit-def: $vgpr32
                                        ; implicit-def: $vgpr30
                                        ; implicit-def: $vgpr28
.LBB6_139:                              ;   in Loop: Header=BB6_81 Depth=3
	s_or_saveexec_b32 s3, s3
	v_mov_b32_e32 v29, 1
	s_xor_b32 exec_lo, exec_lo, s3
	s_cbranch_execz .LBB6_141
; %bb.140:                              ;   in Loop: Header=BB6_81 Depth=3
	v_sub_f32_e32 v25, v31, v27
	v_cvt_f64_f32_e32 v[31:32], v32
	v_cvt_f64_f32_e32 v[28:29], v28
	v_mul_f32_e32 v25, 0.5, v25
	v_cvt_f64_f32_e32 v[33:34], v25
	v_div_scale_f64 v[35:36], null, v[33:34], v[33:34], v[31:32]
	v_div_scale_f64 v[47:48], null, v[33:34], v[33:34], v[28:29]
	v_div_scale_f64 v[57:58], vcc_lo, v[31:32], v[33:34], v[31:32]
	v_rcp_f64_e32 v[49:50], v[35:36]
	v_rcp_f64_e32 v[51:52], v[47:48]
	v_fma_f64 v[53:54], -v[35:36], v[49:50], 1.0
	v_fma_f64 v[55:56], -v[47:48], v[51:52], 1.0
	v_fma_f64 v[49:50], v[49:50], v[53:54], v[49:50]
	v_fma_f64 v[51:52], v[51:52], v[55:56], v[51:52]
	v_fma_f64 v[53:54], -v[35:36], v[49:50], 1.0
	v_fma_f64 v[55:56], -v[47:48], v[51:52], 1.0
	v_fma_f64 v[49:50], v[49:50], v[53:54], v[49:50]
	v_div_scale_f64 v[53:54], s2, v[28:29], v[33:34], v[28:29]
	v_fma_f64 v[51:52], v[51:52], v[55:56], v[51:52]
	v_mul_f64 v[55:56], v[57:58], v[49:50]
	v_mul_f64 v[59:60], v[53:54], v[51:52]
	v_fma_f64 v[35:36], -v[35:36], v[55:56], v[57:58]
	v_fma_f64 v[47:48], -v[47:48], v[59:60], v[53:54]
	v_div_fmas_f64 v[35:36], v[35:36], v[49:50], v[55:56]
	s_mov_b32 vcc_lo, s2
	v_div_fmas_f64 v[47:48], v[47:48], v[51:52], v[59:60]
	v_div_fixup_f64 v[31:32], v[35:36], v[33:34], v[31:32]
	v_div_fixup_f64 v[47:48], v[47:48], v[33:34], v[28:29]
	v_cvt_f64_f32_e32 v[33:34], v30
	v_mul_f64 v[28:29], v[47:48], v[28:29]
	v_fma_f64 v[28:29], v[31:32], v[33:34], -v[28:29]
	v_cvt_f32_f64_e32 v26, v[28:29]
	v_mov_b32_e32 v29, -1
.LBB6_141:                              ;   in Loop: Header=BB6_81 Depth=3
	s_or_b32 exec_lo, exec_lo, s3
	v_cmp_nle_f32_e64 s2, 0, v22
	s_mov_b32 s51, exec_lo
                                        ; implicit-def: $vgpr28
	v_cndmask_b32_e64 v27, v27, -v27, s2
	v_add_f32_e32 v22, v22, v27
                                        ; implicit-def: $vgpr27
	v_cmpx_ngt_f32_e64 |v22|, |v1|
	s_xor_b32 s51, exec_lo, s51
	s_cbranch_execz .LBB6_145
; %bb.142:                              ;   in Loop: Header=BB6_81 Depth=3
	v_mov_b32_e32 v27, 0
	v_mov_b32_e32 v28, 1.0
	s_mov_b32 s52, exec_lo
	v_cmpx_neq_f32_e32 0, v1
	s_cbranch_execz .LBB6_144
; %bb.143:                              ;   in Loop: Header=BB6_81 Depth=3
	v_div_scale_f32 v27, null, v1, v1, -v22
	v_div_scale_f32 v31, vcc_lo, -v22, v1, -v22
	v_rcp_f32_e32 v28, v27
	v_fma_f32 v30, -v27, v28, 1.0
	v_fmac_f32_e32 v28, v30, v28
	v_mul_f32_e32 v30, v31, v28
	v_fma_f32 v32, -v27, v30, v31
	v_fmac_f32_e32 v30, v32, v28
	v_fma_f32 v27, -v27, v30, v31
	v_div_fmas_f32 v27, v27, v28, v30
	v_div_fixup_f32 v1, v27, v1, -v22
	v_fma_f32 v22, v1, v1, 1.0
	v_mul_f32_e32 v27, 0x4f800000, v22
	v_cmp_gt_f32_e32 vcc_lo, 0xf800000, v22
	v_cndmask_b32_e32 v22, v22, v27, vcc_lo
	v_sqrt_f32_e32 v27, v22
	v_add_nc_u32_e32 v28, -1, v27
	v_add_nc_u32_e32 v30, 1, v27
	v_fma_f32 v31, -v28, v27, v22
	v_fma_f32 v32, -v30, v27, v22
	v_cmp_ge_f32_e64 s3, 0, v31
	v_cndmask_b32_e64 v27, v27, v28, s3
	v_cmp_lt_f32_e64 s3, 0, v32
	v_cndmask_b32_e64 v27, v27, v30, s3
	v_mul_f32_e32 v28, 0x37800000, v27
	v_cndmask_b32_e32 v27, v27, v28, vcc_lo
	v_cmp_class_f32_e64 vcc_lo, v22, 0x260
	v_cndmask_b32_e32 v22, v27, v22, vcc_lo
	v_div_scale_f32 v27, null, v22, v22, 1.0
	v_rcp_f32_e32 v28, v27
	v_fma_f32 v30, -v27, v28, 1.0
	v_fmac_f32_e32 v28, v30, v28
	v_div_scale_f32 v30, vcc_lo, 1.0, v22, 1.0
	v_mul_f32_e32 v31, v30, v28
	v_fma_f32 v32, -v27, v31, v30
	v_fmac_f32_e32 v31, v32, v28
	v_fma_f32 v27, -v27, v31, v30
	v_div_fmas_f32 v27, v27, v28, v31
	v_div_fixup_f32 v28, v27, v22, 1.0
	v_mul_f32_e32 v27, v1, v28
.LBB6_144:                              ;   in Loop: Header=BB6_81 Depth=3
	s_or_b32 exec_lo, exec_lo, s52
                                        ; implicit-def: $vgpr22
                                        ; implicit-def: $vgpr1
.LBB6_145:                              ;   in Loop: Header=BB6_81 Depth=3
	s_andn2_saveexec_b32 s51, s51
	s_cbranch_execz .LBB6_147
; %bb.146:                              ;   in Loop: Header=BB6_81 Depth=3
	v_div_scale_f32 v27, null, v22, v22, -v1
	v_div_scale_f32 v31, vcc_lo, -v1, v22, -v1
	v_rcp_f32_e32 v28, v27
	v_fma_f32 v30, -v27, v28, 1.0
	v_fmac_f32_e32 v28, v30, v28
	v_mul_f32_e32 v30, v31, v28
	v_fma_f32 v32, -v27, v30, v31
	v_fmac_f32_e32 v30, v32, v28
	v_fma_f32 v27, -v27, v30, v31
	v_div_fmas_f32 v27, v27, v28, v30
	v_div_fixup_f32 v1, v27, v22, -v1
	v_fma_f32 v22, v1, v1, 1.0
	v_mul_f32_e32 v27, 0x4f800000, v22
	v_cmp_gt_f32_e32 vcc_lo, 0xf800000, v22
	v_cndmask_b32_e32 v22, v22, v27, vcc_lo
	v_sqrt_f32_e32 v27, v22
	v_add_nc_u32_e32 v28, -1, v27
	v_add_nc_u32_e32 v30, 1, v27
	v_fma_f32 v31, -v28, v27, v22
	v_fma_f32 v32, -v30, v27, v22
	v_cmp_ge_f32_e64 s3, 0, v31
	v_cndmask_b32_e64 v27, v27, v28, s3
	v_cmp_lt_f32_e64 s3, 0, v32
	v_cndmask_b32_e64 v27, v27, v30, s3
	v_mul_f32_e32 v28, 0x37800000, v27
	v_cndmask_b32_e32 v27, v27, v28, vcc_lo
	v_cmp_class_f32_e64 vcc_lo, v22, 0x260
	v_cndmask_b32_e32 v22, v27, v22, vcc_lo
	v_div_scale_f32 v27, null, v22, v22, 1.0
	v_rcp_f32_e32 v28, v27
	v_fma_f32 v30, -v27, v28, 1.0
	v_fmac_f32_e32 v28, v30, v28
	v_div_scale_f32 v30, vcc_lo, 1.0, v22, 1.0
	v_mul_f32_e32 v31, v30, v28
	v_fma_f32 v32, -v27, v31, v30
	v_fmac_f32_e32 v31, v32, v28
	v_fma_f32 v27, -v27, v31, v30
	v_div_fmas_f32 v27, v27, v28, v31
	v_div_fixup_f32 v27, v27, v22, 1.0
	v_mul_f32_e32 v28, v1, v27
.LBB6_147:                              ;   in Loop: Header=BB6_81 Depth=3
	s_or_b32 exec_lo, exec_lo, s51
	v_cndmask_b32_e64 v1, 1, -1, s2
	v_add_co_u32 v20, s2, s34, v20
	v_add_co_ci_u32_e64 v21, null, s35, v21, s2
	v_cmp_eq_u32_e32 vcc_lo, v29, v1
	v_add_nc_u32_e32 v17, -2, v17
	v_cndmask_b32_e64 v1, v28, -v27, vcc_lo
	v_cndmask_b32_e32 v29, v27, v28, vcc_lo
	v_add_co_u32 v27, vcc_lo, v20, s40
	v_add_co_ci_u32_e64 v28, null, s41, v21, vcc_lo
	v_add_co_u32 v22, vcc_lo, s83, v23
	v_add_co_ci_u32_e64 v23, null, s84, v24, vcc_lo
	global_store_dword v[20:21], v1, off
	global_store_dword v[27:28], v29, off offset:-4
	global_store_dwordx2 v[18:19], v[25:26], off offset:-4
	global_store_dword v[22:23], v2, off offset:-4
	ds_write_b32 v2, v17
	s_or_b32 exec_lo, exec_lo, s50
                                        ; implicit-def: $vgpr1
.LBB6_148:                              ;   in Loop: Header=BB6_81 Depth=3
	s_andn2_saveexec_b32 s2, s21
.LBB6_149:                              ;   in Loop: Header=BB6_81 Depth=3
	ds_write_b32 v2, v1
.LBB6_150:                              ;   in Loop: Header=BB6_81 Depth=3
	s_or_b32 exec_lo, exec_lo, s2
.LBB6_151:                              ;   in Loop: Header=BB6_81 Depth=3
	s_or_b32 exec_lo, exec_lo, s4
	s_waitcnt lgkmcnt(0)
	s_waitcnt_vscnt null, 0x0
	s_barrier
	buffer_gl0_inv
	ds_read_b64 v[17:18], v2
	s_waitcnt lgkmcnt(0)
	v_readfirstlane_b32 s2, v18
	v_cmp_eq_u32_e32 vcc_lo, s2, v17
	v_mov_b32_e32 v17, s2
	s_cbranch_vccnz .LBB6_80
; %bb.152:                              ;   in Loop: Header=BB6_81 Depth=3
	s_and_saveexec_b32 s4, s1
	s_cbranch_execz .LBB6_79
; %bb.153:                              ;   in Loop: Header=BB6_81 Depth=3
	ds_read_b32 v1, v2 offset:16
	s_ashr_i32 s3, s2, 31
	s_mul_i32 s52, s2, s31
	s_lshl_b64 s[50:51], s[2:3], 2
	s_waitcnt lgkmcnt(0)
	v_readfirstlane_b32 s21, v1
	v_mov_b32_e32 v1, v0
	s_sub_i32 s21, s21, s2
	s_add_u32 s50, s34, s50
	s_addc_u32 s51, s35, s51
	s_ashr_i32 s53, s52, 31
	s_mul_hi_i32 s3, s21, s8
	s_lshl_b64 s[54:55], s[52:53], 2
	s_mul_i32 s2, s21, s8
	s_add_u32 s52, s85, s54
	s_addc_u32 s53, s86, s55
	s_cmp_gt_i32 s21, 0
	v_add_co_u32 v17, vcc_lo, v45, s54
	v_add_co_ci_u32_e64 v18, null, s55, v46, vcc_lo
	s_cselect_b32 s54, -1, 0
	s_lshl_b64 s[2:3], s[2:3], 2
	s_mov_b32 s55, 0
	s_add_u32 s56, s52, s2
	s_addc_u32 s57, s53, s3
	s_branch .LBB6_155
.LBB6_154:                              ;   in Loop: Header=BB6_155 Depth=4
	v_add_nc_u32_e32 v1, s66, v1
	v_add_co_u32 v19, vcc_lo, s56, v19
	v_add_co_ci_u32_e64 v20, null, s57, v20, vcc_lo
	v_cmp_le_i32_e32 vcc_lo, s24, v1
	v_add_co_u32 v17, s2, v17, s72
	v_add_co_ci_u32_e64 v18, null, 0, v18, s2
	s_or_b32 s55, vcc_lo, s55
	s_waitcnt vmcnt(0)
	global_store_dword v[19:20], v23, off
	s_andn2_b32 exec_lo, exec_lo, s55
	s_cbranch_execz .LBB6_79
.LBB6_155:                              ;   Parent Loop BB6_7 Depth=1
                                        ;     Parent Loop BB6_20 Depth=2
                                        ;       Parent Loop BB6_81 Depth=3
                                        ; =>      This Loop Header: Depth=4
                                        ;           Child Loop BB6_156 Depth 5
	v_lshlrev_b64 v[19:20], 2, v[1:2]
	s_mov_b64 s[2:3], s[50:51]
	s_mov_b32 s58, s21
	v_add_co_u32 v21, vcc_lo, s52, v19
	v_add_co_ci_u32_e64 v22, null, s53, v20, vcc_lo
	s_andn2_b32 vcc_lo, exec_lo, s54
	global_load_dword v23, v[21:22], off
	v_mov_b32_e32 v22, v18
	v_mov_b32_e32 v21, v17
	s_cbranch_vccnz .LBB6_154
	.p2align	6
.LBB6_156:                              ;   Parent Loop BB6_7 Depth=1
                                        ;     Parent Loop BB6_20 Depth=2
                                        ;       Parent Loop BB6_81 Depth=3
                                        ;         Parent Loop BB6_155 Depth=4
                                        ; =>        This Inner Loop Header: Depth=5
	v_add_co_u32 v24, vcc_lo, v21, s16
	v_add_co_ci_u32_e64 v25, null, s17, v22, vcc_lo
	s_add_u32 s70, s2, s25
	s_addc_u32 s71, s3, s93
	s_add_i32 s58, s58, -1
	global_load_dword v26, v[24:25], off
	s_clause 0x1
	global_load_dword v27, v2, s[70:71]
	global_load_dword v28, v2, s[2:3]
	s_add_u32 s2, s2, 4
	s_addc_u32 s3, s3, 0
	s_cmp_eq_u32 s58, 0
	s_waitcnt vmcnt(1)
	v_mul_f32_e32 v29, v27, v26
	v_mul_f32_e32 v27, v23, v27
	s_waitcnt vmcnt(0)
	v_fmac_f32_e32 v29, v23, v28
	v_fma_f32 v23, v28, v26, -v27
	global_store_dword v[21:22], v29, off
	v_mov_b32_e32 v21, v24
	v_mov_b32_e32 v22, v25
	s_cbranch_scc0 .LBB6_156
	s_branch .LBB6_154
.LBB6_157:                              ;   in Loop: Header=BB6_81 Depth=3
	s_or_b32 exec_lo, exec_lo, s50
                                        ; implicit-def: $vgpr1
	s_andn2_saveexec_b32 s2, s21
	s_cbranch_execnz .LBB6_149
	s_branch .LBB6_150
.LBB6_158:                              ;   in Loop: Header=BB6_160 Depth=3
	s_or_b32 exec_lo, exec_lo, s21
	s_waitcnt_vscnt null, 0x0
	s_barrier
	buffer_gl0_inv
	ds_read_b32 v25, v2
.LBB6_159:                              ;   in Loop: Header=BB6_160 Depth=3
	ds_read2_b32 v[31:32], v2 offset0:5 offset1:7
	s_waitcnt lgkmcnt(0)
	v_cmp_le_i32_e32 vcc_lo, v25, v31
	v_cmp_gt_i32_e64 s3, s11, v32
	s_and_b32 s3, vcc_lo, s3
	s_andn2_b32 vcc_lo, exec_lo, s3
	s_cbranch_vccnz .LBB6_63
.LBB6_160:                              ;   Parent Loop BB6_7 Depth=1
                                        ;     Parent Loop BB6_20 Depth=2
                                        ; =>    This Loop Header: Depth=3
                                        ;         Child Loop BB6_166 Depth 4
                                        ;         Child Loop BB6_186 Depth 4
	;; [unrolled: 1-line block ×3, first 2 shown]
                                        ;           Child Loop BB6_234 Depth 5
	s_and_saveexec_b32 s21, s0
	s_cbranch_execz .LBB6_229
; %bb.161:                              ;   in Loop: Header=BB6_160 Depth=3
	v_cmp_lt_i32_e32 vcc_lo, v25, v31
	s_mov_b32 s3, 0
	s_cbranch_vccnz .LBB6_163
; %bb.162:                              ;   in Loop: Header=BB6_160 Depth=3
	v_ashrrev_i32_e32 v26, 31, v25
	s_mov_b32 s4, -1
	v_mov_b32_e32 v27, v26
	v_mov_b32_e32 v26, v25
	;; [unrolled: 1-line block ×3, first 2 shown]
	s_cbranch_execz .LBB6_164
	s_branch .LBB6_169
.LBB6_163:                              ;   in Loop: Header=BB6_160 Depth=3
	s_mov_b32 s4, 0
                                        ; implicit-def: $vgpr26_vgpr27
	v_mov_b32_e32 v28, v25
.LBB6_164:                              ;   in Loop: Header=BB6_160 Depth=3
	v_ashrrev_i32_e32 v26, 31, v25
	v_mov_b32_e32 v1, v25
	v_lshlrev_b64 v[21:22], 2, v[25:26]
	v_add_co_u32 v27, vcc_lo, s87, v21
	v_add_co_ci_u32_e64 v28, null, s88, v22, vcc_lo
	v_add_co_u32 v23, vcc_lo, s91, v21
	v_add_co_ci_u32_e64 v24, null, s92, v22, vcc_lo
	s_branch .LBB6_166
	.p2align	6
.LBB6_165:                              ;   in Loop: Header=BB6_166 Depth=4
	v_add_nc_u32_e32 v1, 1, v18
	v_add_co_u32 v27, vcc_lo, v21, 4
	v_add_co_ci_u32_e64 v28, null, 0, v22, vcc_lo
	v_add_co_u32 v23, vcc_lo, v23, 4
	v_add_co_ci_u32_e64 v24, null, 0, v24, vcc_lo
	v_cmp_ge_i32_e64 s4, v1, v31
	s_mov_b32 s3, 0
	s_andn2_b32 vcc_lo, exec_lo, s4
	s_cbranch_vccz .LBB6_168
.LBB6_166:                              ;   Parent Loop BB6_7 Depth=1
                                        ;     Parent Loop BB6_20 Depth=2
                                        ;       Parent Loop BB6_160 Depth=3
                                        ; =>      This Inner Loop Header: Depth=4
	v_mov_b32_e32 v21, v27
	v_mov_b32_e32 v22, v28
	global_load_dwordx2 v[27:28], v[23:24], off
	global_load_dword v18, v[21:22], off
	s_waitcnt vmcnt(1)
	v_mul_f32_e32 v27, v27, v28
	s_waitcnt vmcnt(0)
	v_mul_f32_e32 v18, v18, v18
	v_mul_f32_e64 v27, v39, |v27|
	v_cmp_le_f32_e64 s3, |v18|, v27
	v_mov_b32_e32 v18, v1
	s_and_b32 vcc_lo, exec_lo, s3
	s_cbranch_vccz .LBB6_165
; %bb.167:                              ;   in Loop: Header=BB6_160 Depth=3
	s_mov_b32 s3, -1
                                        ; implicit-def: $vgpr1
                                        ; implicit-def: $vgpr27_vgpr28
                                        ; implicit-def: $vgpr23_vgpr24
.LBB6_168:                              ;   in Loop: Header=BB6_160 Depth=3
	v_mov_b32_e32 v23, v25
	v_mov_b32_e32 v24, v26
	;; [unrolled: 1-line block ×5, first 2 shown]
	s_xor_b32 s4, s3, -1
	s_mov_b32 s3, -1
.LBB6_169:                              ;   in Loop: Header=BB6_160 Depth=3
	s_and_b32 vcc_lo, exec_lo, s4
	s_cbranch_vccnz .LBB6_198
; %bb.170:                              ;   in Loop: Header=BB6_160 Depth=3
	s_andn2_b32 vcc_lo, exec_lo, s3
	s_cbranch_vccnz .LBB6_172
.LBB6_171:                              ;   in Loop: Header=BB6_160 Depth=3
	v_mov_b32_e32 v27, v24
	v_mov_b32_e32 v26, v23
	;; [unrolled: 1-line block ×3, first 2 shown]
	ds_write2_b32 v2, v18, v25 offset0:1 offset1:4
	global_store_dword v[21:22], v2, off
.LBB6_172:                              ;   in Loop: Header=BB6_160 Depth=3
	v_lshlrev_b64 v[30:31], 2, v[26:27]
	v_add_nc_u32_e32 v1, 1, v25
	s_mov_b32 s3, exec_lo
	v_add_co_u32 v26, vcc_lo, s28, v30
	v_add_co_ci_u32_e64 v27, null, s29, v31, vcc_lo
	global_load_dword v47, v[26:27], off
	s_waitcnt vmcnt(0)
	ds_write_b32 v2, v47 offset:8
	v_cmpx_ne_u32_e64 v28, v25
	s_xor_b32 s58, exec_lo, s3
	s_cbranch_execz .LBB6_226
; %bb.173:                              ;   in Loop: Header=BB6_160 Depth=3
	s_mov_b32 s3, exec_lo
	v_cmpx_ne_u32_e64 v28, v1
	s_xor_b32 s4, exec_lo, s3
	s_cbranch_execz .LBB6_202
; %bb.174:                              ;   in Loop: Header=BB6_160 Depth=3
	v_add_co_u32 v30, vcc_lo, s83, v30
	v_add_co_ci_u32_e64 v31, null, s84, v31, vcc_lo
	v_ashrrev_i32_e32 v29, 31, v28
	v_add_nc_u32_e32 v32, 1, v32
	global_load_dword v1, v[26:27], off offset:4
	global_load_dword v48, v[30:31], off
	s_mov_b32 s59, exec_lo
	v_lshlrev_b64 v[35:36], 2, v[28:29]
	ds_write2_b32 v2, v2, v32 offset0:2 offset1:7
	v_add_co_u32 v33, vcc_lo, s28, v35
	v_add_co_ci_u32_e64 v34, null, s29, v36, vcc_lo
	global_load_dword v49, v[33:34], off
	s_waitcnt vmcnt(2)
	v_sub_f32_e32 v1, v1, v47
	s_waitcnt vmcnt(1)
	v_add_f32_e32 v29, v48, v48
	v_div_scale_f32 v50, null, v29, v29, v1
	v_div_scale_f32 v53, vcc_lo, v1, v29, v1
	v_rcp_f32_e32 v51, v50
	v_fma_f32 v52, -v50, v51, 1.0
	v_fmac_f32_e32 v51, v52, v51
	v_mul_f32_e32 v52, v53, v51
	v_fma_f32 v54, -v50, v52, v53
	v_fmac_f32_e32 v52, v54, v51
	v_fma_f32 v50, -v50, v52, v53
	v_div_fmas_f32 v50, v50, v51, v52
	v_div_fixup_f32 v1, v50, v29, v1
	v_fma_f32 v29, v1, v1, 1.0
	v_mul_f32_e32 v50, 0x4f800000, v29
	v_cmp_gt_f32_e32 vcc_lo, 0xf800000, v29
	v_cndmask_b32_e32 v29, v29, v50, vcc_lo
	v_sqrt_f32_e32 v50, v29
	v_add_nc_u32_e32 v51, -1, v50
	v_add_nc_u32_e32 v52, 1, v50
	v_fma_f32 v53, -v51, v50, v29
	v_fma_f32 v54, -v52, v50, v29
	v_cmp_ge_f32_e64 s3, 0, v53
	v_cndmask_b32_e64 v50, v50, v51, s3
	v_cmp_lt_f32_e64 s3, 0, v54
	v_cndmask_b32_e64 v50, v50, v52, s3
	v_mul_f32_e32 v51, 0x37800000, v50
	v_cndmask_b32_e32 v50, v50, v51, vcc_lo
	v_cmp_class_f32_e64 vcc_lo, v29, 0x260
	v_cndmask_b32_e32 v29, v50, v29, vcc_lo
	v_cmp_nle_f32_e32 vcc_lo, 0, v1
	v_cndmask_b32_e64 v29, |v29|, -|v29|, vcc_lo
	v_add_f32_e32 v1, v1, v29
	v_div_scale_f32 v29, null, v1, v1, v48
	v_div_scale_f32 v52, vcc_lo, v48, v1, v48
	v_rcp_f32_e32 v50, v29
	v_fma_f32 v51, -v29, v50, 1.0
	v_fmac_f32_e32 v50, v51, v50
	v_mul_f32_e32 v51, v52, v50
	v_fma_f32 v53, -v29, v51, v52
	v_fmac_f32_e32 v51, v53, v50
	v_fma_f32 v29, -v29, v51, v52
	v_div_fmas_f32 v29, v29, v50, v51
	s_waitcnt vmcnt(0)
	v_sub_f32_e32 v50, v49, v47
	v_div_fixup_f32 v1, v29, v1, v48
	v_mov_b32_e32 v48, 0
	v_add_f32_e32 v29, v50, v1
	v_cmpx_gt_i32_e64 v28, v25
	s_cbranch_execz .LBB6_201
; %bb.175:                              ;   in Loop: Header=BB6_160 Depth=3
	v_add_co_u32 v47, vcc_lo, s83, v35
	v_add_co_ci_u32_e64 v48, null, s84, v36, vcc_lo
	v_mov_b32_e32 v50, 0
	v_mov_b32_e32 v1, 1.0
	s_mov_b32 s50, exec_lo
	global_load_dword v47, v[47:48], off offset:-4
	s_waitcnt vmcnt(0)
	v_cmpx_neq_f32_e32 0, v47
	s_cbranch_execz .LBB6_183
; %bb.176:                              ;   in Loop: Header=BB6_160 Depth=3
	v_mov_b32_e32 v1, 0
	v_mov_b32_e32 v50, 1.0
	s_mov_b32 s51, exec_lo
	v_cmpx_neq_f32_e32 0, v29
	s_cbranch_execz .LBB6_182
; %bb.177:                              ;   in Loop: Header=BB6_160 Depth=3
	s_mov_b32 s52, exec_lo
                                        ; implicit-def: $vgpr50
                                        ; implicit-def: $vgpr1
	v_cmpx_ngt_f32_e64 |v47|, |v29|
	s_xor_b32 s52, exec_lo, s52
	s_cbranch_execz .LBB6_179
; %bb.178:                              ;   in Loop: Header=BB6_160 Depth=3
	v_div_scale_f32 v1, null, v29, v29, -v47
	v_div_scale_f32 v50, vcc_lo, -v47, v29, -v47
	v_rcp_f32_e32 v32, v1
	v_fma_f32 v48, -v1, v32, 1.0
	v_fmac_f32_e32 v32, v48, v32
	v_mul_f32_e32 v48, v50, v32
	v_fma_f32 v51, -v1, v48, v50
	v_fmac_f32_e32 v48, v51, v32
	v_fma_f32 v1, -v1, v48, v50
	v_div_fmas_f32 v1, v1, v32, v48
	v_div_fixup_f32 v29, v1, v29, -v47
	v_fma_f32 v1, v29, v29, 1.0
	v_mul_f32_e32 v32, 0x4f800000, v1
	v_cmp_gt_f32_e32 vcc_lo, 0xf800000, v1
	v_cndmask_b32_e32 v1, v1, v32, vcc_lo
	v_sqrt_f32_e32 v32, v1
	v_add_nc_u32_e32 v48, -1, v32
	v_add_nc_u32_e32 v50, 1, v32
	v_fma_f32 v51, -v48, v32, v1
	v_fma_f32 v52, -v50, v32, v1
	v_cmp_ge_f32_e64 s3, 0, v51
	v_cndmask_b32_e64 v32, v32, v48, s3
	v_cmp_lt_f32_e64 s3, 0, v52
	v_cndmask_b32_e64 v32, v32, v50, s3
	v_mul_f32_e32 v48, 0x37800000, v32
	v_cndmask_b32_e32 v32, v32, v48, vcc_lo
	v_cmp_class_f32_e64 vcc_lo, v1, 0x260
	v_cndmask_b32_e32 v1, v32, v1, vcc_lo
	v_div_scale_f32 v32, null, v1, v1, 1.0
	v_rcp_f32_e32 v48, v32
	v_fma_f32 v50, -v32, v48, 1.0
	v_fmac_f32_e32 v48, v50, v48
	v_div_scale_f32 v50, vcc_lo, 1.0, v1, 1.0
	v_mul_f32_e32 v51, v50, v48
	v_fma_f32 v52, -v32, v51, v50
	v_fmac_f32_e32 v51, v52, v48
	v_fma_f32 v32, -v32, v51, v50
	v_div_fmas_f32 v32, v32, v48, v51
	v_div_fixup_f32 v1, v32, v1, 1.0
	v_mul_f32_e32 v50, v29, v1
                                        ; implicit-def: $vgpr29
.LBB6_179:                              ;   in Loop: Header=BB6_160 Depth=3
	s_andn2_saveexec_b32 s52, s52
	s_cbranch_execz .LBB6_181
; %bb.180:                              ;   in Loop: Header=BB6_160 Depth=3
	v_div_scale_f32 v1, null, v47, v47, -v29
	v_div_scale_f32 v50, vcc_lo, -v29, v47, -v29
	v_rcp_f32_e32 v32, v1
	v_fma_f32 v48, -v1, v32, 1.0
	v_fmac_f32_e32 v32, v48, v32
	v_mul_f32_e32 v48, v50, v32
	v_fma_f32 v51, -v1, v48, v50
	v_fmac_f32_e32 v48, v51, v32
	v_fma_f32 v1, -v1, v48, v50
	v_div_fmas_f32 v1, v1, v32, v48
	v_div_fixup_f32 v1, v1, v47, -v29
	v_fma_f32 v29, v1, v1, 1.0
	v_mul_f32_e32 v32, 0x4f800000, v29
	v_cmp_gt_f32_e32 vcc_lo, 0xf800000, v29
	v_cndmask_b32_e32 v29, v29, v32, vcc_lo
	v_sqrt_f32_e32 v32, v29
	v_add_nc_u32_e32 v48, -1, v32
	v_add_nc_u32_e32 v50, 1, v32
	v_fma_f32 v51, -v48, v32, v29
	v_fma_f32 v52, -v50, v32, v29
	v_cmp_ge_f32_e64 s3, 0, v51
	v_cndmask_b32_e64 v32, v32, v48, s3
	v_cmp_lt_f32_e64 s3, 0, v52
	v_cndmask_b32_e64 v32, v32, v50, s3
	v_mul_f32_e32 v48, 0x37800000, v32
	v_cndmask_b32_e32 v32, v32, v48, vcc_lo
	v_cmp_class_f32_e64 vcc_lo, v29, 0x260
	v_cndmask_b32_e32 v29, v32, v29, vcc_lo
	v_div_scale_f32 v32, null, v29, v29, 1.0
	v_rcp_f32_e32 v48, v32
	v_fma_f32 v50, -v32, v48, 1.0
	v_fmac_f32_e32 v48, v50, v48
	v_div_scale_f32 v50, vcc_lo, 1.0, v29, 1.0
	v_mul_f32_e32 v51, v50, v48
	v_fma_f32 v52, -v32, v51, v50
	v_fmac_f32_e32 v51, v52, v48
	v_fma_f32 v32, -v32, v51, v50
	v_div_fmas_f32 v32, v32, v48, v51
	v_div_fixup_f32 v50, v32, v29, 1.0
	v_mul_f32_e32 v1, v1, v50
.LBB6_181:                              ;   in Loop: Header=BB6_160 Depth=3
	s_or_b32 exec_lo, exec_lo, s52
.LBB6_182:                              ;   in Loop: Header=BB6_160 Depth=3
	s_or_b32 exec_lo, exec_lo, s51
.LBB6_183:                              ;   in Loop: Header=BB6_160 Depth=3
	s_or_b32 exec_lo, exec_lo, s50
	global_load_dword v29, v[33:34], off offset:-4
	v_add_f32_e32 v48, v1, v1
	v_add_co_u32 v35, vcc_lo, s34, v35
	v_add_co_ci_u32_e64 v36, null, s35, v36, vcc_lo
	v_add_nc_u32_e32 v32, -1, v28
	v_add_co_u32 v51, vcc_lo, v35, -4
	v_add_co_ci_u32_e64 v52, null, -1, v36, vcc_lo
	s_mov_b32 s98, exec_lo
	v_add_co_u32 v51, s3, v51, s40
	v_add_co_ci_u32_e64 v52, null, s41, v52, s3
	s_waitcnt vmcnt(0)
	v_sub_f32_e32 v29, v29, v49
	v_mul_f32_e32 v29, v50, v29
	v_fma_f32 v29, v47, v48, -v29
	v_mul_f32_e64 v48, v29, -v50
	v_fma_f32 v49, v29, -v50, v49
	v_fma_f32 v29, v1, v29, -v47
	ds_write_b32 v2, v48 offset:8
	global_store_dword v[33:34], v49, off
	global_store_dword v[35:36], v1, off offset:-4
	global_store_dword v[51:52], v50, off offset:-4
	v_cmpx_gt_i32_e64 v32, v25
	s_cbranch_execz .LBB6_200
; %bb.184:                              ;   in Loop: Header=BB6_160 Depth=3
	v_ashrrev_i32_e32 v33, 31, v32
	v_xor_b32_e32 v49, 0x80000000, v50
	s_mov_b32 s99, -1
	s_mov_b32 s104, 0
	s_mov_b64 s[50:51], s[46:47]
	v_lshlrev_b64 v[32:33], 2, v[32:33]
	s_mov_b64 s[52:53], s[28:29]
	s_mov_b64 s[54:55], s[44:45]
	;; [unrolled: 1-line block ×3, first 2 shown]
	s_branch .LBB6_186
.LBB6_185:                              ;   in Loop: Header=BB6_186 Depth=4
	v_add_co_u32 v34, vcc_lo, s52, v32
	v_add_co_ci_u32_e64 v35, null, s53, v33, vcc_lo
	v_mul_f32_e32 v29, v1, v36
	v_add_f32_e32 v36, v50, v50
	v_xor_b32_e32 v49, 0x80000000, v47
	global_load_dwordx2 v[51:52], v[34:35], off offset:-4
	s_waitcnt vmcnt(0)
	v_sub_f32_e32 v48, v52, v48
	v_add_co_u32 v52, vcc_lo, s54, v32
	v_add_co_ci_u32_e64 v53, null, s55, v33, vcc_lo
	v_sub_f32_e32 v1, v51, v48
	v_add_co_u32 v54, vcc_lo, s56, v32
	s_add_u32 s56, s56, -4
	v_add_co_ci_u32_e64 v55, null, s57, v33, vcc_lo
	s_addc_u32 s57, s57, -1
	s_add_u32 s54, s54, -4
	v_mul_f32_e32 v51, v47, v1
	s_addc_u32 s55, s55, -1
	s_add_i32 s99, s99, -1
	s_add_u32 s52, s52, -4
	v_add_nc_u32_e32 v56, s99, v28
	v_fma_f32 v36, v29, v36, -v51
	v_mov_b32_e32 v1, v50
	s_addc_u32 s53, s53, -1
	s_add_u32 s50, s50, -4
	v_cmp_le_i32_e32 vcc_lo, v56, v25
	v_fma_f32 v51, v36, -v47, v48
	v_mul_f32_e64 v48, v36, -v47
	v_fma_f32 v29, v50, v36, -v29
	s_addc_u32 s51, s51, -1
	s_or_b32 s104, vcc_lo, s104
	global_store_dword v[34:35], v51, off
	global_store_dword v[52:53], v50, off
	;; [unrolled: 1-line block ×3, first 2 shown]
	s_andn2_b32 exec_lo, exec_lo, s104
	s_cbranch_execz .LBB6_199
.LBB6_186:                              ;   Parent Loop BB6_7 Depth=1
                                        ;     Parent Loop BB6_20 Depth=2
                                        ;       Parent Loop BB6_160 Depth=3
                                        ; =>      This Inner Loop Header: Depth=4
	v_add_co_u32 v34, vcc_lo, s50, v32
	v_add_co_ci_u32_e64 v35, null, s51, v33, vcc_lo
	v_mov_b32_e32 v47, 0
	v_mov_b32_e32 v50, 1.0
	s_mov_b32 vcc_hi, exec_lo
	global_load_dword v36, v[34:35], off
	s_waitcnt vmcnt(0)
	v_mul_f32_e32 v49, v49, v36
	v_cmpx_neq_f32_e32 0, v49
	s_cbranch_execz .LBB6_196
; %bb.187:                              ;   in Loop: Header=BB6_186 Depth=4
	v_xor_b32_e32 v51, 0x80000000, v49
                                        ; implicit-def: $vgpr47
                                        ; implicit-def: $vgpr50
	s_mov_b32 s3, exec_lo
	v_cmpx_neq_f32_e32 0, v29
	s_xor_b32 s70, exec_lo, s3
	s_cbranch_execz .LBB6_193
; %bb.188:                              ;   in Loop: Header=BB6_186 Depth=4
	s_mov_b32 s71, exec_lo
                                        ; implicit-def: $vgpr47
                                        ; implicit-def: $vgpr50
	v_cmpx_ngt_f32_e64 |v49|, |v29|
	s_xor_b32 s71, exec_lo, s71
	s_cbranch_execz .LBB6_190
; %bb.189:                              ;   in Loop: Header=BB6_186 Depth=4
	v_div_scale_f32 v47, null, v29, v29, -v49
	v_div_scale_f32 v52, vcc_lo, -v49, v29, -v49
	v_rcp_f32_e32 v50, v47
	v_fma_f32 v51, -v47, v50, 1.0
	v_fmac_f32_e32 v50, v51, v50
	v_mul_f32_e32 v51, v52, v50
	v_fma_f32 v53, -v47, v51, v52
	v_fmac_f32_e32 v51, v53, v50
	v_fma_f32 v47, -v47, v51, v52
	v_div_fmas_f32 v47, v47, v50, v51
	v_div_fixup_f32 v47, v47, v29, -v49
	v_fma_f32 v50, v47, v47, 1.0
	v_mul_f32_e32 v51, 0x4f800000, v50
	v_cmp_gt_f32_e32 vcc_lo, 0xf800000, v50
	v_cndmask_b32_e32 v50, v50, v51, vcc_lo
	v_sqrt_f32_e32 v51, v50
	v_add_nc_u32_e32 v52, -1, v51
	v_add_nc_u32_e32 v53, 1, v51
	v_fma_f32 v54, -v52, v51, v50
	v_fma_f32 v55, -v53, v51, v50
	v_cmp_ge_f32_e64 s3, 0, v54
	v_cndmask_b32_e64 v51, v51, v52, s3
	v_cmp_lt_f32_e64 s3, 0, v55
	v_cndmask_b32_e64 v51, v51, v53, s3
	v_mul_f32_e32 v52, 0x37800000, v51
	v_cndmask_b32_e32 v51, v51, v52, vcc_lo
	v_cmp_class_f32_e64 vcc_lo, v50, 0x260
	v_cndmask_b32_e32 v50, v51, v50, vcc_lo
	v_div_scale_f32 v51, null, v50, v50, 1.0
	v_rcp_f32_e32 v52, v51
	v_fma_f32 v53, -v51, v52, 1.0
	v_fmac_f32_e32 v52, v53, v52
	v_div_scale_f32 v53, vcc_lo, 1.0, v50, 1.0
	v_mul_f32_e32 v54, v53, v52
	v_fma_f32 v55, -v51, v54, v53
	v_fmac_f32_e32 v54, v55, v52
	v_fma_f32 v51, -v51, v54, v53
	v_div_fmas_f32 v51, v51, v52, v54
	v_div_fixup_f32 v50, v51, v50, 1.0
	v_mul_f32_e32 v47, v47, v50
.LBB6_190:                              ;   in Loop: Header=BB6_186 Depth=4
	s_andn2_saveexec_b32 s71, s71
	s_cbranch_execz .LBB6_192
; %bb.191:                              ;   in Loop: Header=BB6_186 Depth=4
	v_div_scale_f32 v47, null, v49, v49, -v29
	v_div_scale_f32 v52, vcc_lo, -v29, v49, -v29
	v_rcp_f32_e32 v50, v47
	v_fma_f32 v51, -v47, v50, 1.0
	v_fmac_f32_e32 v50, v51, v50
	v_mul_f32_e32 v51, v52, v50
	v_fma_f32 v53, -v47, v51, v52
	v_fmac_f32_e32 v51, v53, v50
	v_fma_f32 v47, -v47, v51, v52
	v_div_fmas_f32 v47, v47, v50, v51
	v_div_fixup_f32 v50, v47, v49, -v29
	v_fma_f32 v47, v50, v50, 1.0
	v_mul_f32_e32 v51, 0x4f800000, v47
	v_cmp_gt_f32_e32 vcc_lo, 0xf800000, v47
	v_cndmask_b32_e32 v47, v47, v51, vcc_lo
	v_sqrt_f32_e32 v51, v47
	v_add_nc_u32_e32 v52, -1, v51
	v_add_nc_u32_e32 v53, 1, v51
	v_fma_f32 v54, -v52, v51, v47
	v_fma_f32 v55, -v53, v51, v47
	v_cmp_ge_f32_e64 s3, 0, v54
	v_cndmask_b32_e64 v51, v51, v52, s3
	v_cmp_lt_f32_e64 s3, 0, v55
	v_cndmask_b32_e64 v51, v51, v53, s3
	v_mul_f32_e32 v52, 0x37800000, v51
	v_cndmask_b32_e32 v51, v51, v52, vcc_lo
	v_cmp_class_f32_e64 vcc_lo, v47, 0x260
	v_cndmask_b32_e32 v47, v51, v47, vcc_lo
	v_div_scale_f32 v51, null, v47, v47, 1.0
	v_rcp_f32_e32 v52, v51
	v_fma_f32 v53, -v51, v52, 1.0
	v_fmac_f32_e32 v52, v53, v52
	v_div_scale_f32 v53, vcc_lo, 1.0, v47, 1.0
	v_mul_f32_e32 v54, v53, v52
	v_fma_f32 v55, -v51, v54, v53
	v_fmac_f32_e32 v54, v55, v52
	v_fma_f32 v51, -v51, v54, v53
	v_div_fmas_f32 v51, v51, v52, v54
	v_div_fixup_f32 v47, v51, v47, 1.0
	v_mul_f32_e32 v50, v50, v47
.LBB6_192:                              ;   in Loop: Header=BB6_186 Depth=4
	s_or_b32 exec_lo, exec_lo, s71
	v_mul_f32_e32 v49, v49, v47
	v_fma_f32 v51, v29, v50, -v49
.LBB6_193:                              ;   in Loop: Header=BB6_186 Depth=4
	s_andn2_saveexec_b32 s3, s70
; %bb.194:                              ;   in Loop: Header=BB6_186 Depth=4
	v_mov_b32_e32 v50, 0
	v_mov_b32_e32 v47, 1.0
; %bb.195:                              ;   in Loop: Header=BB6_186 Depth=4
	s_or_b32 exec_lo, exec_lo, s3
	v_mov_b32_e32 v29, v51
.LBB6_196:                              ;   in Loop: Header=BB6_186 Depth=4
	s_or_b32 exec_lo, exec_lo, vcc_hi
	s_cmp_eq_u32 s99, 0
	s_cbranch_scc1 .LBB6_185
; %bb.197:                              ;   in Loop: Header=BB6_186 Depth=4
	global_store_dword v[34:35], v29, off offset:4
	s_branch .LBB6_185
.LBB6_198:                              ;   in Loop: Header=BB6_160 Depth=3
	ds_write2_b32 v2, v28, v25 offset0:1 offset1:4
	s_cbranch_execz .LBB6_171
	s_branch .LBB6_172
.LBB6_199:                              ;   in Loop: Header=BB6_160 Depth=3
	s_or_b32 exec_lo, exec_lo, s104
	ds_write_b32 v2, v48 offset:8
.LBB6_200:                              ;   in Loop: Header=BB6_160 Depth=3
	s_or_b32 exec_lo, exec_lo, s98
	global_load_dword v47, v[26:27], off
.LBB6_201:                              ;   in Loop: Header=BB6_160 Depth=3
	s_or_b32 exec_lo, exec_lo, s59
	s_waitcnt vmcnt(0)
	v_sub_f32_e32 v1, v47, v48
                                        ; implicit-def: $vgpr25
                                        ; implicit-def: $vgpr47
	global_store_dword v[26:27], v1, off
	global_store_dword v[30:31], v29, off
                                        ; implicit-def: $vgpr30_vgpr31
                                        ; implicit-def: $vgpr26_vgpr27
.LBB6_202:                              ;   in Loop: Header=BB6_160 Depth=3
	s_andn2_saveexec_b32 s50, s4
	s_cbranch_execz .LBB6_235
; %bb.203:                              ;   in Loop: Header=BB6_160 Depth=3
	v_add_co_u32 v28, vcc_lo, s83, v30
	v_add_co_ci_u32_e64 v29, null, s84, v31, vcc_lo
	s_mov_b32 s4, exec_lo
                                        ; implicit-def: $vgpr35
	global_load_dword v36, v[28:29], off
	global_load_dword v32, v[26:27], off offset:4
	s_waitcnt vmcnt(1)
	v_add_f32_e32 v1, v36, v36
	s_waitcnt vmcnt(0)
	v_sub_f32_e32 v34, v47, v32
	v_and_b32_e32 v33, 0x7fffffff, v1
	v_cmpx_ngt_f32_e64 |v34|, |v1|
	s_xor_b32 s4, exec_lo, s4
	s_cbranch_execz .LBB6_209
; %bb.204:                              ;   in Loop: Header=BB6_160 Depth=3
	v_cmp_nlt_f32_e64 s3, |v34|, |v1|
                                        ; implicit-def: $vgpr35
	s_and_saveexec_b32 s51, s3
	s_xor_b32 s3, exec_lo, s51
	s_cbranch_execz .LBB6_206
; %bb.205:                              ;   in Loop: Header=BB6_160 Depth=3
	v_cvt_f64_f32_e32 v[48:49], v33
                                        ; implicit-def: $vgpr33
	v_mul_f64 v[48:49], v[48:49], s[18:19]
	v_cvt_f32_f64_e32 v35, v[48:49]
.LBB6_206:                              ;   in Loop: Header=BB6_160 Depth=3
	s_andn2_saveexec_b32 s51, s3
	s_cbranch_execz .LBB6_208
; %bb.207:                              ;   in Loop: Header=BB6_160 Depth=3
	v_and_b32_e32 v35, 0x7fffffff, v34
	v_div_scale_f32 v48, null, v33, v33, v35
	v_div_scale_f32 v33, vcc_lo, v35, v33, v35
	v_rcp_f32_e32 v49, v48
	v_fma_f32 v50, -v48, v49, 1.0
	v_fmac_f32_e32 v49, v50, v49
	v_mul_f32_e32 v35, v33, v49
	v_fma_f32 v50, -v48, v35, v33
	v_fmac_f32_e32 v35, v50, v49
	v_fma_f32 v33, -v48, v35, v33
	v_div_fmas_f32 v33, v33, v49, v35
	v_div_fixup_f32 v33, v33, |v1|, |v34|
	v_fma_f32 v33, v33, v33, 1.0
	v_mul_f32_e32 v35, 0x4f800000, v33
	v_cmp_gt_f32_e32 vcc_lo, 0xf800000, v33
	v_cndmask_b32_e32 v33, v33, v35, vcc_lo
	v_sqrt_f32_e32 v35, v33
	v_add_nc_u32_e32 v48, -1, v35
	v_add_nc_u32_e32 v49, 1, v35
	v_fma_f32 v50, -v48, v35, v33
	v_fma_f32 v51, -v49, v35, v33
	v_cmp_ge_f32_e64 s3, 0, v50
	v_cndmask_b32_e64 v35, v35, v48, s3
	v_cmp_lt_f32_e64 s3, 0, v51
	v_cndmask_b32_e64 v35, v35, v49, s3
	v_mul_f32_e32 v48, 0x37800000, v35
	v_cndmask_b32_e32 v35, v35, v48, vcc_lo
	v_cmp_class_f32_e64 vcc_lo, v33, 0x260
	v_cndmask_b32_e32 v33, v35, v33, vcc_lo
	v_mul_f32_e64 v35, |v1|, v33
.LBB6_208:                              ;   in Loop: Header=BB6_160 Depth=3
	s_or_b32 exec_lo, exec_lo, s51
                                        ; implicit-def: $vgpr33
.LBB6_209:                              ;   in Loop: Header=BB6_160 Depth=3
	s_andn2_saveexec_b32 s4, s4
	s_cbranch_execz .LBB6_211
; %bb.210:                              ;   in Loop: Header=BB6_160 Depth=3
	v_and_b32_e32 v35, 0x7fffffff, v34
	v_div_scale_f32 v48, null, v35, v35, v33
	v_div_scale_f32 v33, vcc_lo, v33, v35, v33
	v_rcp_f32_e32 v49, v48
	v_fma_f32 v50, -v48, v49, 1.0
	v_fmac_f32_e32 v49, v50, v49
	v_mul_f32_e32 v35, v33, v49
	v_fma_f32 v50, -v48, v35, v33
	v_fmac_f32_e32 v35, v50, v49
	v_fma_f32 v33, -v48, v35, v33
	v_div_fmas_f32 v33, v33, v49, v35
	v_div_fixup_f32 v33, v33, |v34|, |v1|
	v_fma_f32 v33, v33, v33, 1.0
	v_mul_f32_e32 v35, 0x4f800000, v33
	v_cmp_gt_f32_e32 vcc_lo, 0xf800000, v33
	v_cndmask_b32_e32 v33, v33, v35, vcc_lo
	v_sqrt_f32_e32 v35, v33
	v_add_nc_u32_e32 v48, -1, v35
	v_add_nc_u32_e32 v49, 1, v35
	v_fma_f32 v50, -v48, v35, v33
	v_fma_f32 v51, -v49, v35, v33
	v_cmp_ge_f32_e64 s3, 0, v50
	v_cndmask_b32_e64 v35, v35, v48, s3
	v_cmp_lt_f32_e64 s3, 0, v51
	v_cndmask_b32_e64 v35, v35, v49, s3
	v_mul_f32_e32 v48, 0x37800000, v35
	v_cndmask_b32_e32 v35, v35, v48, vcc_lo
	v_cmp_class_f32_e64 vcc_lo, v33, 0x260
	v_cndmask_b32_e32 v33, v35, v33, vcc_lo
	v_mul_f32_e64 v35, |v34|, v33
.LBB6_211:                              ;   in Loop: Header=BB6_160 Depth=3
	s_or_b32 exec_lo, exec_lo, s4
	v_cmp_gt_f32_e64 vcc_lo, |v47|, |v32|
	v_add_f32_e32 v49, v47, v32
	s_mov_b32 s3, exec_lo
	v_cndmask_b32_e32 v48, v47, v32, vcc_lo
	v_cndmask_b32_e32 v50, v32, v47, vcc_lo
                                        ; implicit-def: $vgpr33
	v_cmpx_ngt_f32_e32 0, v49
	s_xor_b32 s4, exec_lo, s3
	s_cbranch_execz .LBB6_217
; %bb.212:                              ;   in Loop: Header=BB6_160 Depth=3
	s_mov_b32 s3, exec_lo
                                        ; implicit-def: $vgpr33
	v_cmpx_nlt_f32_e32 0, v49
	s_xor_b32 s3, exec_lo, s3
; %bb.213:                              ;   in Loop: Header=BB6_160 Depth=3
	v_mul_f32_e32 v32, 0.5, v35
	v_mul_f32_e32 v33, -0.5, v35
                                        ; implicit-def: $vgpr49
                                        ; implicit-def: $vgpr50
                                        ; implicit-def: $vgpr48
                                        ; implicit-def: $vgpr36
; %bb.214:                              ;   in Loop: Header=BB6_160 Depth=3
	s_andn2_saveexec_b32 s51, s3
	s_cbranch_execz .LBB6_216
; %bb.215:                              ;   in Loop: Header=BB6_160 Depth=3
	v_add_f32_e32 v32, v49, v35
	v_cvt_f64_f32_e32 v[49:50], v50
	v_cvt_f64_f32_e32 v[53:54], v36
	;; [unrolled: 1-line block ×3, first 2 shown]
	v_mul_f32_e32 v32, 0.5, v32
	v_cvt_f64_f32_e32 v[51:52], v32
	v_div_scale_f64 v[55:56], null, v[51:52], v[51:52], v[49:50]
	v_div_scale_f64 v[57:58], null, v[51:52], v[51:52], v[53:54]
	v_div_scale_f64 v[67:68], vcc_lo, v[49:50], v[51:52], v[49:50]
	v_rcp_f64_e32 v[59:60], v[55:56]
	v_rcp_f64_e32 v[61:62], v[57:58]
	v_fma_f64 v[63:64], -v[55:56], v[59:60], 1.0
	v_fma_f64 v[65:66], -v[57:58], v[61:62], 1.0
	v_fma_f64 v[59:60], v[59:60], v[63:64], v[59:60]
	v_fma_f64 v[61:62], v[61:62], v[65:66], v[61:62]
	v_fma_f64 v[63:64], -v[55:56], v[59:60], 1.0
	v_fma_f64 v[65:66], -v[57:58], v[61:62], 1.0
	v_fma_f64 v[59:60], v[59:60], v[63:64], v[59:60]
	v_div_scale_f64 v[63:64], s3, v[53:54], v[51:52], v[53:54]
	v_fma_f64 v[61:62], v[61:62], v[65:66], v[61:62]
	v_mul_f64 v[65:66], v[67:68], v[59:60]
	v_mul_f64 v[69:70], v[63:64], v[61:62]
	v_fma_f64 v[55:56], -v[55:56], v[65:66], v[67:68]
	v_fma_f64 v[57:58], -v[57:58], v[69:70], v[63:64]
	v_div_fmas_f64 v[55:56], v[55:56], v[59:60], v[65:66]
	s_mov_b32 vcc_lo, s3
	v_div_fmas_f64 v[57:58], v[57:58], v[61:62], v[69:70]
	v_div_fixup_f64 v[49:50], v[55:56], v[51:52], v[49:50]
	v_div_fixup_f64 v[57:58], v[57:58], v[51:52], v[53:54]
	v_mul_f64 v[51:52], v[57:58], v[53:54]
	v_fma_f64 v[47:48], v[49:50], v[47:48], -v[51:52]
	v_cvt_f32_f64_e32 v33, v[47:48]
.LBB6_216:                              ;   in Loop: Header=BB6_160 Depth=3
	s_or_b32 exec_lo, exec_lo, s51
                                        ; implicit-def: $vgpr49
                                        ; implicit-def: $vgpr50
                                        ; implicit-def: $vgpr48
                                        ; implicit-def: $vgpr36
.LBB6_217:                              ;   in Loop: Header=BB6_160 Depth=3
	s_or_saveexec_b32 s4, s4
	v_mov_b32_e32 v47, 1
	s_xor_b32 exec_lo, exec_lo, s4
	s_cbranch_execz .LBB6_219
; %bb.218:                              ;   in Loop: Header=BB6_160 Depth=3
	v_sub_f32_e32 v32, v49, v35
	v_cvt_f64_f32_e32 v[49:50], v50
	v_cvt_f64_f32_e32 v[53:54], v36
	;; [unrolled: 1-line block ×3, first 2 shown]
	v_mul_f32_e32 v32, 0.5, v32
	v_cvt_f64_f32_e32 v[51:52], v32
	v_div_scale_f64 v[55:56], null, v[51:52], v[51:52], v[49:50]
	v_div_scale_f64 v[57:58], null, v[51:52], v[51:52], v[53:54]
	v_div_scale_f64 v[67:68], vcc_lo, v[49:50], v[51:52], v[49:50]
	v_rcp_f64_e32 v[59:60], v[55:56]
	v_rcp_f64_e32 v[61:62], v[57:58]
	v_fma_f64 v[63:64], -v[55:56], v[59:60], 1.0
	v_fma_f64 v[65:66], -v[57:58], v[61:62], 1.0
	v_fma_f64 v[59:60], v[59:60], v[63:64], v[59:60]
	v_fma_f64 v[61:62], v[61:62], v[65:66], v[61:62]
	v_fma_f64 v[63:64], -v[55:56], v[59:60], 1.0
	v_fma_f64 v[65:66], -v[57:58], v[61:62], 1.0
	v_fma_f64 v[59:60], v[59:60], v[63:64], v[59:60]
	v_div_scale_f64 v[63:64], s3, v[53:54], v[51:52], v[53:54]
	v_fma_f64 v[61:62], v[61:62], v[65:66], v[61:62]
	v_mul_f64 v[65:66], v[67:68], v[59:60]
	v_mul_f64 v[69:70], v[63:64], v[61:62]
	v_fma_f64 v[55:56], -v[55:56], v[65:66], v[67:68]
	v_fma_f64 v[57:58], -v[57:58], v[69:70], v[63:64]
	v_div_fmas_f64 v[55:56], v[55:56], v[59:60], v[65:66]
	s_mov_b32 vcc_lo, s3
	v_div_fmas_f64 v[57:58], v[57:58], v[61:62], v[69:70]
	v_div_fixup_f64 v[49:50], v[55:56], v[51:52], v[49:50]
	v_div_fixup_f64 v[57:58], v[57:58], v[51:52], v[53:54]
	v_mul_f64 v[51:52], v[57:58], v[53:54]
	v_fma_f64 v[47:48], v[49:50], v[47:48], -v[51:52]
	v_cvt_f32_f64_e32 v33, v[47:48]
	v_mov_b32_e32 v47, -1
.LBB6_219:                              ;   in Loop: Header=BB6_160 Depth=3
	s_or_b32 exec_lo, exec_lo, s4
	v_cmp_nle_f32_e64 s3, 0, v34
	s_mov_b32 s51, exec_lo
                                        ; implicit-def: $vgpr36
	v_cndmask_b32_e64 v35, v35, -v35, s3
	v_add_f32_e32 v34, v34, v35
                                        ; implicit-def: $vgpr35
	v_cmpx_ngt_f32_e64 |v34|, |v1|
	s_xor_b32 s51, exec_lo, s51
	s_cbranch_execz .LBB6_223
; %bb.220:                              ;   in Loop: Header=BB6_160 Depth=3
	v_mov_b32_e32 v35, 0
	v_mov_b32_e32 v36, 1.0
	s_mov_b32 s52, exec_lo
	v_cmpx_neq_f32_e32 0, v1
	s_cbranch_execz .LBB6_222
; %bb.221:                              ;   in Loop: Header=BB6_160 Depth=3
	v_div_scale_f32 v35, null, v1, v1, -v34
	v_div_scale_f32 v49, vcc_lo, -v34, v1, -v34
	v_rcp_f32_e32 v36, v35
	v_fma_f32 v48, -v35, v36, 1.0
	v_fmac_f32_e32 v36, v48, v36
	v_mul_f32_e32 v48, v49, v36
	v_fma_f32 v50, -v35, v48, v49
	v_fmac_f32_e32 v48, v50, v36
	v_fma_f32 v35, -v35, v48, v49
	v_div_fmas_f32 v35, v35, v36, v48
	v_div_fixup_f32 v1, v35, v1, -v34
	v_fma_f32 v34, v1, v1, 1.0
	v_mul_f32_e32 v35, 0x4f800000, v34
	v_cmp_gt_f32_e32 vcc_lo, 0xf800000, v34
	v_cndmask_b32_e32 v34, v34, v35, vcc_lo
	v_sqrt_f32_e32 v35, v34
	v_add_nc_u32_e32 v36, -1, v35
	v_add_nc_u32_e32 v48, 1, v35
	v_fma_f32 v49, -v36, v35, v34
	v_fma_f32 v50, -v48, v35, v34
	v_cmp_ge_f32_e64 s4, 0, v49
	v_cndmask_b32_e64 v35, v35, v36, s4
	v_cmp_lt_f32_e64 s4, 0, v50
	v_cndmask_b32_e64 v35, v35, v48, s4
	v_mul_f32_e32 v36, 0x37800000, v35
	v_cndmask_b32_e32 v35, v35, v36, vcc_lo
	v_cmp_class_f32_e64 vcc_lo, v34, 0x260
	v_cndmask_b32_e32 v34, v35, v34, vcc_lo
	v_div_scale_f32 v35, null, v34, v34, 1.0
	v_rcp_f32_e32 v36, v35
	v_fma_f32 v48, -v35, v36, 1.0
	v_fmac_f32_e32 v36, v48, v36
	v_div_scale_f32 v48, vcc_lo, 1.0, v34, 1.0
	v_mul_f32_e32 v49, v48, v36
	v_fma_f32 v50, -v35, v49, v48
	v_fmac_f32_e32 v49, v50, v36
	v_fma_f32 v35, -v35, v49, v48
	v_div_fmas_f32 v35, v35, v36, v49
	v_div_fixup_f32 v36, v35, v34, 1.0
	v_mul_f32_e32 v35, v1, v36
.LBB6_222:                              ;   in Loop: Header=BB6_160 Depth=3
	s_or_b32 exec_lo, exec_lo, s52
                                        ; implicit-def: $vgpr34
                                        ; implicit-def: $vgpr1
.LBB6_223:                              ;   in Loop: Header=BB6_160 Depth=3
	s_andn2_saveexec_b32 s51, s51
	s_cbranch_execz .LBB6_225
; %bb.224:                              ;   in Loop: Header=BB6_160 Depth=3
	v_div_scale_f32 v35, null, v34, v34, -v1
	v_div_scale_f32 v49, vcc_lo, -v1, v34, -v1
	v_rcp_f32_e32 v36, v35
	v_fma_f32 v48, -v35, v36, 1.0
	v_fmac_f32_e32 v36, v48, v36
	v_mul_f32_e32 v48, v49, v36
	v_fma_f32 v50, -v35, v48, v49
	v_fmac_f32_e32 v48, v50, v36
	v_fma_f32 v35, -v35, v48, v49
	v_div_fmas_f32 v35, v35, v36, v48
	v_div_fixup_f32 v1, v35, v34, -v1
	v_fma_f32 v34, v1, v1, 1.0
	v_mul_f32_e32 v35, 0x4f800000, v34
	v_cmp_gt_f32_e32 vcc_lo, 0xf800000, v34
	v_cndmask_b32_e32 v34, v34, v35, vcc_lo
	v_sqrt_f32_e32 v35, v34
	v_add_nc_u32_e32 v36, -1, v35
	v_add_nc_u32_e32 v48, 1, v35
	v_fma_f32 v49, -v36, v35, v34
	v_fma_f32 v50, -v48, v35, v34
	v_cmp_ge_f32_e64 s4, 0, v49
	v_cndmask_b32_e64 v35, v35, v36, s4
	v_cmp_lt_f32_e64 s4, 0, v50
	v_cndmask_b32_e64 v35, v35, v48, s4
	v_mul_f32_e32 v36, 0x37800000, v35
	v_cndmask_b32_e32 v35, v35, v36, vcc_lo
	v_cmp_class_f32_e64 vcc_lo, v34, 0x260
	v_cndmask_b32_e32 v34, v35, v34, vcc_lo
	v_div_scale_f32 v35, null, v34, v34, 1.0
	v_rcp_f32_e32 v36, v35
	v_fma_f32 v48, -v35, v36, 1.0
	v_fmac_f32_e32 v36, v48, v36
	v_div_scale_f32 v48, vcc_lo, 1.0, v34, 1.0
	v_mul_f32_e32 v49, v48, v36
	v_fma_f32 v50, -v35, v49, v48
	v_fmac_f32_e32 v49, v50, v36
	v_fma_f32 v35, -v35, v49, v48
	v_div_fmas_f32 v35, v35, v36, v49
	v_div_fixup_f32 v35, v35, v34, 1.0
	v_mul_f32_e32 v36, v1, v35
.LBB6_225:                              ;   in Loop: Header=BB6_160 Depth=3
	s_or_b32 exec_lo, exec_lo, s51
	v_cndmask_b32_e64 v1, 1, -1, s3
	v_add_co_u32 v30, s3, s34, v30
	v_add_co_ci_u32_e64 v31, null, s35, v31, s3
	v_cmp_eq_u32_e32 vcc_lo, v47, v1
	v_add_nc_u32_e32 v25, 2, v25
	v_cndmask_b32_e32 v1, v35, v36, vcc_lo
	v_cndmask_b32_e64 v36, v36, -v35, vcc_lo
	v_add_co_u32 v34, vcc_lo, v30, s40
	v_add_co_ci_u32_e64 v35, null, s41, v31, vcc_lo
	global_store_dword v[30:31], v36, off
	global_store_dword v[34:35], v1, off offset:-4
	global_store_dwordx2 v[26:27], v[32:33], off
	global_store_dword v[28:29], v2, off
	ds_write_b32 v2, v25
	s_or_b32 exec_lo, exec_lo, s50
                                        ; implicit-def: $vgpr1
.LBB6_226:                              ;   in Loop: Header=BB6_160 Depth=3
	s_andn2_saveexec_b32 s3, s58
.LBB6_227:                              ;   in Loop: Header=BB6_160 Depth=3
	ds_write_b32 v2, v1
.LBB6_228:                              ;   in Loop: Header=BB6_160 Depth=3
	s_or_b32 exec_lo, exec_lo, s3
.LBB6_229:                              ;   in Loop: Header=BB6_160 Depth=3
	s_or_b32 exec_lo, exec_lo, s21
	s_waitcnt lgkmcnt(0)
	s_waitcnt_vscnt null, 0x0
	s_barrier
	buffer_gl0_inv
	ds_read_b64 v[25:26], v2
	s_waitcnt lgkmcnt(0)
	v_readfirstlane_b32 s3, v26
	v_cmp_eq_u32_e32 vcc_lo, s3, v25
	v_mov_b32_e32 v25, s3
	s_cbranch_vccnz .LBB6_159
; %bb.230:                              ;   in Loop: Header=BB6_160 Depth=3
	s_and_saveexec_b32 s21, s1
	s_cbranch_execz .LBB6_158
; %bb.231:                              ;   in Loop: Header=BB6_160 Depth=3
	ds_read_b32 v25, v2 offset:16
	s_waitcnt lgkmcnt(0)
	v_mul_lo_u32 v27, v25, s31
	v_readfirstlane_b32 s4, v25
	v_ashrrev_i32_e32 v26, 31, v25
	s_sub_i32 s50, s3, s4
	v_lshlrev_b64 v[25:26], 2, v[25:26]
	s_mul_hi_i32 s53, s50, s8
	s_mul_i32 s52, s50, s8
	v_ashrrev_i32_e32 v28, 31, v27
	s_lshl_b64 s[52:53], s[52:53], 2
	s_cmp_gt_i32 s50, 0
	s_cselect_b32 s51, -1, 0
	s_add_i32 s4, s50, -1
	v_lshlrev_b64 v[27:28], 2, v[27:28]
	s_lshl_b64 s[54:55], s[4:5], 2
	s_mul_i32 s3, s17, s4
	v_add_co_u32 v1, vcc_lo, v25, s54
	s_mul_hi_u32 s56, s16, s4
	s_mul_i32 s4, s16, s4
	v_add_co_ci_u32_e64 v26, null, s55, v26, vcc_lo
	v_add_co_u32 v35, vcc_lo, s85, v27
	s_add_i32 s56, s56, s3
	v_add_co_ci_u32_e64 v36, null, s86, v28, vcc_lo
	v_add_co_u32 v27, vcc_lo, s4, v27
	v_add_co_ci_u32_e64 v28, null, s56, v28, vcc_lo
	v_add_co_u32 v25, vcc_lo, s94, v1
	v_add_co_ci_u32_e64 v26, null, s95, v26, vcc_lo
	v_add_co_u32 v47, vcc_lo, v35, s52
	v_add_co_ci_u32_e64 v48, null, s53, v36, vcc_lo
	v_add_co_u32 v27, vcc_lo, v45, v27
	v_add_co_ci_u32_e64 v28, null, v46, v28, vcc_lo
	v_mov_b32_e32 v1, v0
	s_mov_b32 s4, 0
	s_branch .LBB6_233
.LBB6_232:                              ;   in Loop: Header=BB6_233 Depth=4
	v_add_nc_u32_e32 v1, s66, v1
	v_add_co_u32 v27, s3, v27, s72
	v_add_co_ci_u32_e64 v28, null, 0, v28, s3
	v_cmp_le_i32_e32 vcc_lo, s24, v1
	s_waitcnt vmcnt(0)
	global_store_dword v[29:30], v49, off
	s_or_b32 s4, vcc_lo, s4
	s_andn2_b32 exec_lo, exec_lo, s4
	s_cbranch_execz .LBB6_158
.LBB6_233:                              ;   Parent Loop BB6_7 Depth=1
                                        ;     Parent Loop BB6_20 Depth=2
                                        ;       Parent Loop BB6_160 Depth=3
                                        ; =>      This Loop Header: Depth=4
                                        ;           Child Loop BB6_234 Depth 5
	v_lshlrev_b64 v[29:30], 2, v[1:2]
	v_mov_b32_e32 v34, v26
	v_mov_b32_e32 v33, v25
	s_mov_b32 s3, s50
	v_add_co_u32 v31, vcc_lo, v47, v29
	v_add_co_ci_u32_e64 v32, null, v48, v30, vcc_lo
	v_add_co_u32 v29, vcc_lo, v35, v29
	v_add_co_ci_u32_e64 v30, null, v36, v30, vcc_lo
	global_load_dword v49, v[31:32], off
	v_mov_b32_e32 v32, v28
	v_mov_b32_e32 v31, v27
	s_andn2_b32 vcc_lo, exec_lo, s51
	s_cbranch_vccnz .LBB6_232
	.p2align	6
.LBB6_234:                              ;   Parent Loop BB6_7 Depth=1
                                        ;     Parent Loop BB6_20 Depth=2
                                        ;       Parent Loop BB6_160 Depth=3
                                        ;         Parent Loop BB6_233 Depth=4
                                        ; =>        This Inner Loop Header: Depth=5
	v_add_co_u32 v50, vcc_lo, v33, s25
	v_add_co_ci_u32_e64 v51, null, s93, v34, vcc_lo
	s_mul_i32 s53, s3, s9
	s_mul_hi_u32 s55, s3, s8
	global_load_dword v52, v[31:32], off
	s_clause 0x1
	global_load_dword v53, v[50:51], off
	global_load_dword v54, v[33:34], off
	s_mul_i32 s52, s3, s8
	v_add_co_u32 v33, vcc_lo, v33, -4
	s_add_i32 s53, s55, s53
	s_waitcnt vmcnt(3)
	v_mov_b32_e32 v55, v49
	v_add_co_ci_u32_e64 v34, null, -1, v34, vcc_lo
	v_add_co_u32 v31, vcc_lo, v31, s79
	s_lshl_b64 s[52:53], s[52:53], 2
	v_add_co_ci_u32_e64 v32, null, s80, v32, vcc_lo
	v_add_co_u32 v50, vcc_lo, v29, s52
	v_add_co_ci_u32_e64 v51, null, s53, v30, vcc_lo
	s_add_i32 s54, s3, -1
	s_cmp_eq_u32 s54, 0
	s_mov_b32 s3, s54
	s_waitcnt vmcnt(0)
	v_mul_f32_e32 v49, v54, v52
	v_mul_f32_e32 v52, v53, v52
	v_fmac_f32_e32 v49, v55, v53
	v_fma_f32 v52, v55, v54, -v52
	global_store_dword v[50:51], v52, off
	s_cbranch_scc0 .LBB6_234
	s_branch .LBB6_232
.LBB6_235:                              ;   in Loop: Header=BB6_160 Depth=3
	s_or_b32 exec_lo, exec_lo, s50
                                        ; implicit-def: $vgpr1
	s_andn2_saveexec_b32 s3, s58
	s_cbranch_execnz .LBB6_227
	s_branch .LBB6_228
.LBB6_236:                              ;   in Loop: Header=BB6_7 Depth=1
	s_mov_b32 s2, exec_lo
	v_cmpx_gt_i32_e64 s20, v0
	s_cbranch_execz .LBB6_5
; %bb.237:                              ;   in Loop: Header=BB6_7 Depth=1
	s_lshl_b64 s[22:23], s[22:23], 2
	v_mov_b32_e32 v1, v0
	v_add_co_u32 v17, vcc_lo, v40, s22
	v_add_co_ci_u32_e64 v18, null, s23, v41, vcc_lo
	s_mov_b32 s3, 0
	s_inst_prefetch 0x1
	s_branch .LBB6_239
	.p2align	6
.LBB6_238:                              ;   in Loop: Header=BB6_239 Depth=2
	s_or_b32 exec_lo, exec_lo, s1
	v_add_nc_u32_e32 v1, s66, v1
	v_add_co_u32 v17, s1, v17, s72
	v_add_co_ci_u32_e64 v18, null, 0, v18, s1
	v_cmp_le_i32_e32 vcc_lo, s20, v1
	s_or_b32 s3, vcc_lo, s3
	s_andn2_b32 exec_lo, exec_lo, s3
	s_cbranch_execz .LBB6_5
.LBB6_239:                              ;   Parent Loop BB6_7 Depth=1
                                        ; =>  This Inner Loop Header: Depth=2
	global_load_dword v19, v[17:18], off
	s_mov_b32 s1, exec_lo
	s_waitcnt vmcnt(0)
	v_cmpx_neq_f32_e32 0, v19
	s_cbranch_execz .LBB6_238
; %bb.240:                              ;   in Loop: Header=BB6_239 Depth=2
	s_mov_b32 s4, exec_lo
	v_mbcnt_lo_u32_b32 v19, s4, 0
	v_cmp_eq_u32_e32 vcc_lo, 0, v19
	s_and_b32 s11, exec_lo, vcc_lo
	s_mov_b32 exec_lo, s11
	s_cbranch_execz .LBB6_238
; %bb.241:                              ;   in Loop: Header=BB6_239 Depth=2
	s_bcnt1_i32_b32 s4, s4
	v_mov_b32_e32 v19, s4
	global_atomic_add v2, v19, s[14:15]
	s_branch .LBB6_238
.LBB6_242:
	s_endpgm
.LBB6_243:
                                        ; implicit-def: $sgpr12_sgpr13
	s_branch .LBB6_2
	.section	.rodata,"a",@progbits
	.p2align	6, 0x0
	.amdhsa_kernel _ZN9rocsolver6v33100L19stedcx_solve_kernelIfEEviPT_lS3_lS3_iilPiS3_S4_S2_S2_S2_
		.amdhsa_group_segment_fixed_size 36
		.amdhsa_private_segment_fixed_size 0
		.amdhsa_kernarg_size 360
		.amdhsa_user_sgpr_count 6
		.amdhsa_user_sgpr_private_segment_buffer 1
		.amdhsa_user_sgpr_dispatch_ptr 0
		.amdhsa_user_sgpr_queue_ptr 0
		.amdhsa_user_sgpr_kernarg_segment_ptr 1
		.amdhsa_user_sgpr_dispatch_id 0
		.amdhsa_user_sgpr_flat_scratch_init 0
		.amdhsa_user_sgpr_private_segment_size 0
		.amdhsa_wavefront_size32 1
		.amdhsa_uses_dynamic_stack 0
		.amdhsa_system_sgpr_private_segment_wavefront_offset 0
		.amdhsa_system_sgpr_workgroup_id_x 1
		.amdhsa_system_sgpr_workgroup_id_y 1
		.amdhsa_system_sgpr_workgroup_id_z 1
		.amdhsa_system_sgpr_workgroup_info 0
		.amdhsa_system_vgpr_workitem_id 0
		.amdhsa_next_free_vgpr 72
		.amdhsa_next_free_sgpr 105
		.amdhsa_reserve_vcc 1
		.amdhsa_reserve_flat_scratch 0
		.amdhsa_float_round_mode_32 0
		.amdhsa_float_round_mode_16_64 0
		.amdhsa_float_denorm_mode_32 3
		.amdhsa_float_denorm_mode_16_64 3
		.amdhsa_dx10_clamp 1
		.amdhsa_ieee_mode 1
		.amdhsa_fp16_overflow 0
		.amdhsa_workgroup_processor_mode 1
		.amdhsa_memory_ordered 1
		.amdhsa_forward_progress 1
		.amdhsa_shared_vgpr_count 0
		.amdhsa_exception_fp_ieee_invalid_op 0
		.amdhsa_exception_fp_denorm_src 0
		.amdhsa_exception_fp_ieee_div_zero 0
		.amdhsa_exception_fp_ieee_overflow 0
		.amdhsa_exception_fp_ieee_underflow 0
		.amdhsa_exception_fp_ieee_inexact 0
		.amdhsa_exception_int_div_zero 0
	.end_amdhsa_kernel
	.section	.text._ZN9rocsolver6v33100L19stedcx_solve_kernelIfEEviPT_lS3_lS3_iilPiS3_S4_S2_S2_S2_,"axG",@progbits,_ZN9rocsolver6v33100L19stedcx_solve_kernelIfEEviPT_lS3_lS3_iilPiS3_S4_S2_S2_S2_,comdat
.Lfunc_end6:
	.size	_ZN9rocsolver6v33100L19stedcx_solve_kernelIfEEviPT_lS3_lS3_iilPiS3_S4_S2_S2_S2_, .Lfunc_end6-_ZN9rocsolver6v33100L19stedcx_solve_kernelIfEEviPT_lS3_lS3_iilPiS3_S4_S2_S2_S2_
                                        ; -- End function
	.set _ZN9rocsolver6v33100L19stedcx_solve_kernelIfEEviPT_lS3_lS3_iilPiS3_S4_S2_S2_S2_.num_vgpr, 72
	.set _ZN9rocsolver6v33100L19stedcx_solve_kernelIfEEviPT_lS3_lS3_iilPiS3_S4_S2_S2_S2_.num_agpr, 0
	.set _ZN9rocsolver6v33100L19stedcx_solve_kernelIfEEviPT_lS3_lS3_iilPiS3_S4_S2_S2_S2_.numbered_sgpr, 105
	.set _ZN9rocsolver6v33100L19stedcx_solve_kernelIfEEviPT_lS3_lS3_iilPiS3_S4_S2_S2_S2_.num_named_barrier, 0
	.set _ZN9rocsolver6v33100L19stedcx_solve_kernelIfEEviPT_lS3_lS3_iilPiS3_S4_S2_S2_S2_.private_seg_size, 0
	.set _ZN9rocsolver6v33100L19stedcx_solve_kernelIfEEviPT_lS3_lS3_iilPiS3_S4_S2_S2_S2_.uses_vcc, 1
	.set _ZN9rocsolver6v33100L19stedcx_solve_kernelIfEEviPT_lS3_lS3_iilPiS3_S4_S2_S2_S2_.uses_flat_scratch, 0
	.set _ZN9rocsolver6v33100L19stedcx_solve_kernelIfEEviPT_lS3_lS3_iilPiS3_S4_S2_S2_S2_.has_dyn_sized_stack, 0
	.set _ZN9rocsolver6v33100L19stedcx_solve_kernelIfEEviPT_lS3_lS3_iilPiS3_S4_S2_S2_S2_.has_recursion, 0
	.set _ZN9rocsolver6v33100L19stedcx_solve_kernelIfEEviPT_lS3_lS3_iilPiS3_S4_S2_S2_S2_.has_indirect_call, 0
	.section	.AMDGPU.csdata,"",@progbits
; Kernel info:
; codeLenInByte = 14200
; TotalNumSgprs: 107
; NumVgprs: 72
; ScratchSize: 0
; MemoryBound: 0
; FloatMode: 240
; IeeeMode: 1
; LDSByteSize: 36 bytes/workgroup (compile time only)
; SGPRBlocks: 0
; VGPRBlocks: 8
; NumSGPRsForWavesPerEU: 107
; NumVGPRsForWavesPerEU: 72
; Occupancy: 12
; WaveLimiterHint : 1
; COMPUTE_PGM_RSRC2:SCRATCH_EN: 0
; COMPUTE_PGM_RSRC2:USER_SGPR: 6
; COMPUTE_PGM_RSRC2:TRAP_HANDLER: 0
; COMPUTE_PGM_RSRC2:TGID_X_EN: 1
; COMPUTE_PGM_RSRC2:TGID_Y_EN: 1
; COMPUTE_PGM_RSRC2:TGID_Z_EN: 1
; COMPUTE_PGM_RSRC2:TIDIG_COMP_CNT: 0
	.section	.text._ZN9rocsolver6v33100L26stedcx_mergePrepare_kernelIfEEviiPT_lS3_lS3_iilS3_S3_PiS2_,"axG",@progbits,_ZN9rocsolver6v33100L26stedcx_mergePrepare_kernelIfEEviiPT_lS3_lS3_iilS3_S3_PiS2_,comdat
	.globl	_ZN9rocsolver6v33100L26stedcx_mergePrepare_kernelIfEEviiPT_lS3_lS3_iilS3_S3_PiS2_ ; -- Begin function _ZN9rocsolver6v33100L26stedcx_mergePrepare_kernelIfEEviiPT_lS3_lS3_iilS3_S3_PiS2_
	.p2align	8
	.type	_ZN9rocsolver6v33100L26stedcx_mergePrepare_kernelIfEEviiPT_lS3_lS3_iilS3_S3_PiS2_,@function
_ZN9rocsolver6v33100L26stedcx_mergePrepare_kernelIfEEviiPT_lS3_lS3_iilS3_S3_PiS2_: ; @_ZN9rocsolver6v33100L26stedcx_mergePrepare_kernelIfEEviiPT_lS3_lS3_iilS3_S3_PiS2_
; %bb.0:
	s_clause 0x1
	s_load_dwordx4 s[28:31], s[4:5], 0x28
	s_load_dwordx8 s[12:19], s[4:5], 0x38
	s_mov_b32 s10, s7
	s_waitcnt lgkmcnt(0)
	s_cmp_lg_u64 s[28:29], 0
	s_cbranch_scc0 .LBB7_82
; %bb.1:
	s_ashr_i32 s0, s8, 31
	s_mul_hi_u32 s1, s12, s8
	s_mul_i32 s2, s12, s0
	s_mul_i32 s3, s13, s8
	s_add_i32 s1, s1, s2
	s_mul_i32 s2, s12, s8
	s_add_i32 s3, s1, s3
	s_ashr_i32 s13, s30, 31
	s_lshl_b64 s[2:3], s[2:3], 2
	s_mov_b32 s12, s30
	s_add_u32 s1, s28, s2
	s_addc_u32 s7, s29, s3
	s_lshl_b64 s[2:3], s[12:13], 2
	s_add_u32 s12, s1, s2
	s_addc_u32 s13, s7, s3
	s_cbranch_execnz .LBB7_3
.LBB7_2:
	s_ashr_i32 s0, s8, 31
                                        ; implicit-def: $sgpr12_sgpr13
.LBB7_3:
	s_load_dwordx2 s[28:29], s[4:5], 0x0
	s_waitcnt lgkmcnt(0)
	s_mul_i32 s1, s29, 5
	s_add_i32 s1, s1, 2
	s_mul_i32 s2, s1, s8
	s_ashr_i32 s3, s2, 31
	s_lshl_b64 s[36:37], s[2:3], 2
	s_mov_b32 s2, s29
	s_add_u32 s7, s18, s36
	s_addc_u32 s30, s19, s37
	s_ashr_i32 s3, s29, 31
	s_lshl_b64 s[38:39], s[2:3], 2
	s_add_u32 s34, s7, s38
	s_addc_u32 s35, s30, s39
	s_load_dword s33, s[34:35], 0x4
	s_waitcnt lgkmcnt(0)
	s_cmp_ge_i32 s10, s33
	s_cbranch_scc1 .LBB7_81
; %bb.4:
	s_load_dwordx8 s[20:27], s[4:5], 0x8
	v_lshlrev_b32_e32 v3, 2, v0
	s_bfm_b32 s59, s28, 0
	v_mov_b32_e32 v11, 0
	v_add_nc_u32_e32 v12, 0, v3
	s_waitcnt lgkmcnt(0)
	s_mul_i32 s1, s22, s0
	s_mul_hi_u32 s3, s22, s8
	s_mul_i32 s9, s23, s8
	s_add_i32 s1, s3, s1
	s_mul_i32 s22, s22, s8
	s_add_i32 s23, s1, s9
	s_mul_i32 s3, s26, s0
	s_lshl_b64 s[0:1], s[22:23], 2
	s_mul_hi_u32 s9, s26, s8
	s_mul_i32 s11, s27, s8
	s_add_u32 s27, s20, s0
	s_addc_u32 s40, s21, s1
	s_add_i32 s1, s9, s3
	s_mul_i32 s0, s26, s8
	s_add_i32 s1, s1, s11
	s_load_dword s3, s[4:5], 0x6c
	s_lshl_b64 s[0:1], s[0:1], 2
	s_add_u32 s26, s24, s0
	s_addc_u32 s41, s25, s1
	s_add_u32 s42, s34, s38
	s_addc_u32 s43, s35, s39
	;; [unrolled: 2-line block ×4, first 2 shown]
	s_lshl_b32 s9, s8, 1
	s_mul_i32 s8, s29, s29
	s_mul_i32 s0, s9, s29
	s_mul_i32 s20, s9, s8
	s_ashr_i32 s1, s0, 31
	s_mov_b32 s9, 0
	s_lshl_b64 s[0:1], s[0:1], 2
	s_add_u32 s48, s14, s0
	s_addc_u32 s49, s15, s1
	s_ashr_i32 s21, s20, 31
	s_lshl_b64 s[0:1], s[20:21], 2
	s_add_u32 s11, s16, s0
	s_addc_u32 s14, s17, s1
	s_lshl_b64 s[0:1], s[8:9], 2
	s_load_dword s8, s[4:5], 0x58
	s_add_u32 s50, s11, s0
	s_addc_u32 s51, s14, s1
	s_waitcnt lgkmcnt(0)
	s_bfe_u32 s52, s3, 0xf0001
	s_and_b32 s53, s3, 0xffff
	v_cvt_f32_u32_e32 v1, s52
	s_lshl_b32 s1, s53, 2
	s_lshl_b32 s0, 1, s28
	s_lshl_b32 s61, 2, s28
	s_not_b32 s54, s28
	v_rcp_iflag_f32_e32 v1, v1
	s_add_i32 s55, s1, 0
	s_cmp_gt_i32 s0, 1
	s_mul_i32 s4, s61, s6
	s_cselect_b32 s56, -1, 0
	s_ashr_i32 s5, s4, 31
	s_cmp_gt_i32 s61, 1
	v_add_nc_u32_e32 v14, s55, v3
	s_cselect_b32 s57, -1, 0
	s_cmp_gt_i32 s29, 0
	v_mul_f32_e32 v1, 0x4f7ffffe, v1
	s_cselect_b32 s58, -1, 0
	s_sub_i32 s0, 0, s52
	s_add_u32 s14, s38, s36
	s_addc_u32 s15, s39, s37
	v_cvt_u32_f32_e32 v1, v1
	s_add_u32 s16, s18, s14
	s_addc_u32 s17, s19, s15
	s_lshl_b32 s20, s53, 1
	v_mul_f32_e64 v13, 0x41000000, s8
	v_mul_lo_u32 v2, s0, v1
	s_lshl_b64 s[8:9], s[4:5], 2
	s_and_b32 s38, s20, 0x1fffc
	s_add_u32 s5, s14, s8
	s_mul_i32 s11, s2, 12
	s_mul_hi_i32 s3, s2, 12
	v_cmp_eq_u32_e64 s0, 0, v0
	v_cmp_gt_u32_e64 s1, s52, v0
	v_mul_hi_u32 v2, v1, v2
	v_cmp_le_u32_e64 s2, s52, v0
	s_mul_i32 s60, s31, s52
	v_add_nc_u32_e32 v1, v1, v2
	v_mul_hi_u32 v1, v0, v1
	v_mul_lo_u32 v2, v1, s52
	v_add_nc_u32_e32 v4, 1, v1
	v_sub_nc_u32_e32 v2, v0, v2
	v_subrev_nc_u32_e32 v5, s52, v2
	v_cmp_le_u32_e32 vcc_lo, s52, v2
	v_cndmask_b32_e32 v1, v1, v4, vcc_lo
	v_cndmask_b32_e32 v2, v2, v5, vcc_lo
	v_add_nc_u32_e32 v3, 1, v1
	v_cmp_le_u32_e32 vcc_lo, s52, v2
	v_cndmask_b32_e32 v3, v1, v3, vcc_lo
	v_lshl_add_u32 v1, v3, s28, s4
	v_mul_lo_u32 v3, v3, s52
	s_addc_u32 s4, s15, s9
	s_add_u32 s5, s18, s5
	s_addc_u32 s4, s19, s4
	v_ashrrev_i32_e32 v2, 31, v1
	s_add_u32 s28, s5, 12
	s_addc_u32 s39, s4, 0
	s_add_i32 s61, s61, -1
	s_add_u32 s4, s11, s36
	v_lshlrev_b64 v[1:2], 2, v[1:2]
	s_addc_u32 s3, s3, s37
	s_add_u32 s4, s18, s4
	v_sub_nc_u32_e32 v15, v0, v3
	s_addc_u32 s3, s19, s3
	s_add_u32 s36, s4, 8
	v_add_co_u32 v4, vcc_lo, s16, v1
	v_add_co_ci_u32_e64 v5, null, s17, v2, vcc_lo
	s_mov_b32 s14, 0x667f3bcd
	v_add_co_u32 v16, vcc_lo, v4, 12
	v_add_co_ci_u32_e64 v17, null, 0, v5, vcc_lo
	s_addc_u32 s37, s3, 0
	s_mov_b32 s15, 0x3ff6a09e
	s_branch .LBB7_6
.LBB7_5:                                ;   in Loop: Header=BB7_6 Depth=1
	s_inst_prefetch 0x2
	s_add_i32 s10, s10, 8
	s_cmp_ge_i32 s10, s33
	s_cbranch_scc1 .LBB7_81
.LBB7_6:                                ; =>This Loop Header: Depth=1
                                        ;     Child Loop BB7_14 Depth 2
                                        ;     Child Loop BB7_21 Depth 2
	;; [unrolled: 1-line block ×7, first 2 shown]
                                        ;       Child Loop BB7_41 Depth 3
                                        ;         Child Loop BB7_72 Depth 4
                                        ;     Child Loop BB7_77 Depth 2
	s_ashr_i32 s11, s10, 31
	s_lshl_b64 s[4:5], s[10:11], 2
	s_barrier
	s_add_u32 s4, s7, s4
	s_addc_u32 s5, s30, s5
	buffer_gl0_inv
	global_load_dwordx2 v[3:4], v11, s[4:5]
	s_mov_b32 s5, 0
	s_waitcnt vmcnt(0)
	v_readfirstlane_b32 s4, v3
	v_readfirstlane_b32 s3, v4
	s_sub_i32 s3, s3, s4
	s_cmp_lt_i32 s3, 3
	s_cbranch_scc1 .LBB7_11
; %bb.7:                                ;   in Loop: Header=BB7_6 Depth=1
	s_cmp_lt_u32 s3, 5
	s_mov_b32 s5, 1
	s_cbranch_scc1 .LBB7_11
; %bb.8:                                ;   in Loop: Header=BB7_6 Depth=1
	s_cmp_lt_u32 s3, 33
	s_mov_b32 s5, 2
	s_cbranch_scc1 .LBB7_11
; %bb.9:                                ;   in Loop: Header=BB7_6 Depth=1
	s_cmpk_lt_u32 s3, 0xe9
	s_mov_b32 s5, 4
	s_cbranch_scc1 .LBB7_11
; %bb.10:                               ;   in Loop: Header=BB7_6 Depth=1
	s_cmpk_lt_u32 s3, 0x128
	s_cselect_b32 s5, 5, 7
	s_cmpk_lt_u32 s3, 0x79b
	s_cselect_b32 s5, s5, 8
.LBB7_11:                               ;   in Loop: Header=BB7_6 Depth=1
	s_add_i32 s3, s5, s54
	s_lshl_b32 s5, 1, s3
	s_cmp_gt_i32 s3, -1
	s_cselect_b32 s3, s5, 0
	s_cmp_ge_i32 s6, s3
	s_cbranch_scc1 .LBB7_5
; %bb.12:                               ;   in Loop: Header=BB7_6 Depth=1
	s_ashr_i32 s5, s4, 31
	s_lshl_b64 s[4:5], s[4:5], 2
	s_add_u32 s11, s34, s4
	s_addc_u32 s18, s35, s5
	s_add_u32 s16, s42, s4
	s_addc_u32 s17, s43, s5
	v_add_co_u32 v3, vcc_lo, s16, v1
	v_add_co_ci_u32_e64 v4, null, s17, v2, vcc_lo
	v_add_co_u32 v6, vcc_lo, s11, v1
	v_add_co_ci_u32_e64 v7, null, s18, v2, vcc_lo
	s_clause 0x1
	global_load_dword v5, v[3:4], off offset:8
	global_load_dword v3, v[6:7], off offset:8
	s_andn2_b32 vcc_lo, exec_lo, s56
	s_cbranch_vccnz .LBB7_15
; %bb.13:                               ;   in Loop: Header=BB7_6 Depth=1
	v_add_co_u32 v6, vcc_lo, v16, s4
	v_add_co_ci_u32_e64 v7, null, s5, v17, vcc_lo
	s_mov_b32 s3, s59
.LBB7_14:                               ;   Parent Loop BB7_6 Depth=1
                                        ; =>  This Inner Loop Header: Depth=2
	global_load_dword v4, v[6:7], off
	v_add_co_u32 v6, vcc_lo, v6, 4
	v_add_co_ci_u32_e64 v7, null, 0, v7, vcc_lo
	s_add_i32 s3, s3, -1
	s_cmp_eq_u32 s3, 0
	s_waitcnt vmcnt(0)
	v_add_nc_u32_e32 v3, v4, v3
	s_cbranch_scc0 .LBB7_14
.LBB7_15:                               ;   in Loop: Header=BB7_6 Depth=1
	s_waitcnt vmcnt(1)
	v_ashrrev_i32_e32 v6, 31, v5
                                        ; implicit-def: $vgpr7_vgpr8
	s_and_saveexec_b32 s3, s2
	s_xor_b32 s3, exec_lo, s3
; %bb.16:                               ;   in Loop: Header=BB7_6 Depth=1
	v_lshlrev_b64 v[7:8], 2, v[5:6]
	v_add_co_u32 v4, vcc_lo, s26, v7
	v_add_co_ci_u32_e64 v8, null, s41, v8, vcc_lo
	v_add_co_u32 v7, vcc_lo, v4, -4
	v_add_co_ci_u32_e64 v8, null, -1, v8, vcc_lo
; %bb.17:                               ;   in Loop: Header=BB7_6 Depth=1
	s_or_saveexec_b32 s3, s3
	s_waitcnt vmcnt(0)
	v_ashrrev_i32_e32 v4, 31, v3
	s_xor_b32 exec_lo, exec_lo, s3
	s_cbranch_execz .LBB7_19
; %bb.18:                               ;   in Loop: Header=BB7_6 Depth=1
	v_add_co_u32 v7, vcc_lo, v5, v3
	v_add_co_ci_u32_e64 v8, null, v6, v4, vcc_lo
	v_lshlrev_b64 v[7:8], 2, v[7:8]
	v_add_co_u32 v7, vcc_lo, s26, v7
	v_add_co_ci_u32_e64 v8, null, s41, v8, vcc_lo
	v_add_co_u32 v7, vcc_lo, v7, -4
	v_add_co_ci_u32_e64 v8, null, -1, v8, vcc_lo
.LBB7_19:                               ;   in Loop: Header=BB7_6 Depth=1
	s_or_b32 exec_lo, exec_lo, s3
	global_load_dword v10, v[7:8], off
	v_mov_b32_e32 v7, 0
	v_mov_b32_e32 v8, 0
	s_mov_b32 s19, exec_lo
	v_cmpx_lt_i32_e64 v15, v3
	s_cbranch_execz .LBB7_25
; %bb.20:                               ;   in Loop: Header=BB7_6 Depth=1
	v_lshlrev_b64 v[6:7], 2, v[5:6]
	v_lshlrev_b64 v[8:9], 2, v[3:4]
	v_mov_b32_e32 v20, v15
	s_mov_b32 s20, 0
	v_add_co_u32 v19, vcc_lo, s12, v6
	v_add_co_ci_u32_e64 v18, null, s13, v7, vcc_lo
	v_add_nc_u32_e32 v6, v15, v5
	v_add_co_u32 v4, vcc_lo, v19, v8
	v_add_co_ci_u32_e64 v5, null, v18, v9, vcc_lo
	v_ashrrev_i32_e32 v7, 31, v6
	v_add_co_u32 v8, vcc_lo, v4, -4
	v_add_co_ci_u32_e64 v9, null, -1, v5, vcc_lo
	v_lshlrev_b64 v[4:5], 2, v[6:7]
	v_mul_lo_u32 v6, s31, v6
	v_cndmask_b32_e64 v19, v19, v8, s1
	v_cndmask_b32_e64 v18, v18, v9, s1
	v_add_co_u32 v8, vcc_lo, s48, v4
	v_add_co_ci_u32_e64 v9, null, s49, v5, vcc_lo
	s_inst_prefetch 0x1
	.p2align	6
.LBB7_21:                               ;   Parent Loop BB7_6 Depth=1
                                        ; =>  This Inner Loop Header: Depth=2
	v_ashrrev_i32_e32 v7, 31, v6
	v_add_nc_u32_e32 v20, s52, v20
	v_lshlrev_b64 v[21:22], 2, v[6:7]
	v_add_nc_u32_e32 v6, s60, v6
	v_add_co_u32 v21, vcc_lo, v19, v21
	v_add_co_ci_u32_e64 v22, null, v18, v22, vcc_lo
	global_load_dword v7, v[21:22], off
	s_waitcnt vmcnt(0)
	v_cvt_f64_f32_e32 v[21:22], v7
	v_div_scale_f64 v[23:24], null, s[14:15], s[14:15], v[21:22]
	v_div_scale_f64 v[29:30], vcc_lo, v[21:22], s[14:15], v[21:22]
	v_rcp_f64_e32 v[25:26], v[23:24]
	v_fma_f64 v[27:28], -v[23:24], v[25:26], 1.0
	v_fma_f64 v[25:26], v[25:26], v[27:28], v[25:26]
	v_fma_f64 v[27:28], -v[23:24], v[25:26], 1.0
	v_fma_f64 v[25:26], v[25:26], v[27:28], v[25:26]
	v_mul_f64 v[27:28], v[29:30], v[25:26]
	v_fma_f64 v[23:24], -v[23:24], v[27:28], v[29:30]
	v_div_fmas_f64 v[23:24], v[23:24], v[25:26], v[27:28]
	v_cmp_ge_i32_e32 vcc_lo, v20, v3
	s_or_b32 s20, vcc_lo, s20
	v_div_fixup_f64 v[21:22], v[23:24], s[14:15], v[21:22]
	v_cvt_f32_f64_e32 v7, v[21:22]
	global_store_dword v[8:9], v7, off
	v_add_co_u32 v8, s3, v8, s38
	v_add_co_ci_u32_e64 v9, null, 0, v9, s3
	s_andn2_b32 exec_lo, exec_lo, s20
	s_cbranch_execnz .LBB7_21
; %bb.22:                               ;   in Loop: Header=BB7_6 Depth=1
	s_inst_prefetch 0x2
	s_or_b32 exec_lo, exec_lo, s20
	v_mov_b32_e32 v7, 0
	v_mov_b32_e32 v6, v15
	;; [unrolled: 1-line block ×3, first 2 shown]
	s_mov_b32 s3, 0
	.p2align	6
.LBB7_23:                               ;   Parent Loop BB7_6 Depth=1
                                        ; =>  This Inner Loop Header: Depth=2
	v_add_co_u32 v18, vcc_lo, s27, v4
	v_add_co_ci_u32_e64 v19, null, s40, v5, vcc_lo
	v_add_co_u32 v20, vcc_lo, s48, v4
	v_add_co_ci_u32_e64 v21, null, s49, v5, vcc_lo
	global_load_dword v9, v[18:19], off
	global_load_dword v18, v[20:21], off
	v_add_nc_u32_e32 v6, s52, v6
	v_add_co_u32 v4, vcc_lo, v4, s38
	v_add_co_ci_u32_e64 v5, null, 0, v5, vcc_lo
	v_cmp_ge_i32_e32 vcc_lo, v6, v3
	s_or_b32 s3, vcc_lo, s3
	s_waitcnt vmcnt(1)
	v_cmp_gt_f32_e64 s20, |v9|, v8
	v_cndmask_b32_e64 v8, v8, |v9|, s20
	s_waitcnt vmcnt(0)
	v_cmp_gt_f32_e64 s20, |v18|, v7
	v_cndmask_b32_e64 v7, v7, |v18|, s20
	s_andn2_b32 exec_lo, exec_lo, s3
	s_cbranch_execnz .LBB7_23
; %bb.24:                               ;   in Loop: Header=BB7_6 Depth=1
	s_or_b32 exec_lo, exec_lo, s3
.LBB7_25:                               ;   in Loop: Header=BB7_6 Depth=1
	s_or_b32 exec_lo, exec_lo, s19
	s_mov_b32 s3, s52
	ds_write_b32 v12, v8
	ds_write_b32 v14, v7
	s_waitcnt vmcnt(0) lgkmcnt(0)
	s_waitcnt_vscnt null, 0x0
	s_barrier
	buffer_gl0_inv
	s_inst_prefetch 0x1
	s_branch .LBB7_27
	.p2align	6
.LBB7_26:                               ;   in Loop: Header=BB7_27 Depth=2
	s_or_b32 exec_lo, exec_lo, s19
	s_lshr_b32 s19, s3, 1
	s_cmp_gt_u32 s3, 1
	s_mov_b32 s3, s19
	s_waitcnt lgkmcnt(0)
	s_barrier
	buffer_gl0_inv
	s_cbranch_scc0 .LBB7_29
.LBB7_27:                               ;   Parent Loop BB7_6 Depth=1
                                        ; =>  This Inner Loop Header: Depth=2
	s_mov_b32 s19, exec_lo
	v_cmpx_gt_u32_e64 s3, v0
	s_cbranch_execz .LBB7_26
; %bb.28:                               ;   in Loop: Header=BB7_27 Depth=2
	s_lshl_b32 s20, s3, 2
	v_add_nc_u32_e32 v3, s20, v12
	v_add_nc_u32_e32 v4, s20, v14
	ds_read_b32 v3, v3
	ds_read_b32 v4, v4
	s_waitcnt lgkmcnt(1)
	v_cmp_gt_f32_e32 vcc_lo, v3, v8
	v_cndmask_b32_e32 v8, v8, v3, vcc_lo
	s_waitcnt lgkmcnt(0)
	v_cmp_gt_f32_e32 vcc_lo, v4, v7
	v_cndmask_b32_e32 v7, v7, v4, vcc_lo
	ds_write_b32 v12, v8
	ds_write_b32 v14, v7
	s_branch .LBB7_26
.LBB7_29:                               ;   in Loop: Header=BB7_6 Depth=1
	s_inst_prefetch 0x2
	s_add_u32 s20, s11, s8
	s_addc_u32 s21, s18, s9
	v_mov_b32_e32 v4, s55
	global_load_dword v5, v11, s[20:21] offset:8
	ds_read_b32 v3, v11
	ds_read_b32 v4, v4
	s_andn2_b32 vcc_lo, exec_lo, s57
	s_waitcnt vmcnt(0)
	v_readfirstlane_b32 s11, v5
	s_cbranch_vccnz .LBB7_32
; %bb.30:                               ;   in Loop: Header=BB7_6 Depth=1
	s_add_u32 s4, s28, s4
	s_addc_u32 s5, s39, s5
	s_mov_b32 s3, s61
.LBB7_31:                               ;   Parent Loop BB7_6 Depth=1
                                        ; =>  This Inner Loop Header: Depth=2
	global_load_dword v5, v11, s[4:5]
	s_waitcnt vmcnt(0)
	v_readfirstlane_b32 s18, v5
	s_add_i32 s11, s18, s11
	s_add_u32 s4, s4, 4
	s_addc_u32 s5, s5, 0
	s_add_i32 s3, s3, -1
	s_cmp_eq_u32 s3, 0
	s_cbranch_scc0 .LBB7_31
.LBB7_32:                               ;   in Loop: Header=BB7_6 Depth=1
	s_add_u32 s4, s16, s8
	s_addc_u32 s5, s17, s9
	s_waitcnt lgkmcnt(0)
	v_cmp_gt_f32_e32 vcc_lo, v4, v3
	global_load_dword v5, v11, s[4:5] offset:8
	v_add_f32_e32 v18, v10, v10
	s_mov_b32 s4, exec_lo
	v_cndmask_b32_e32 v3, v3, v4, vcc_lo
	v_mul_f32_e32 v19, v13, v3
	s_waitcnt vmcnt(0)
	v_readfirstlane_b32 s16, v5
	v_cmpx_gt_i32_e64 s11, v0
	s_cbranch_execz .LBB7_35
; %bb.33:                               ;   in Loop: Header=BB7_6 Depth=1
	v_mov_b32_e32 v3, v0
	s_mov_b32 s5, 0
	.p2align	6
.LBB7_34:                               ;   Parent Loop BB7_6 Depth=1
                                        ; =>  This Inner Loop Header: Depth=2
	v_add_nc_u32_e32 v4, s16, v3
	v_add_nc_u32_e32 v3, s53, v3
	v_ashrrev_i32_e32 v5, 31, v4
	v_lshlrev_b64 v[4:5], 2, v[4:5]
	v_add_co_u32 v6, vcc_lo, s48, v4
	v_add_co_ci_u32_e64 v7, null, s49, v5, vcc_lo
	v_add_co_u32 v4, s3, s44, v4
	v_add_co_ci_u32_e64 v5, null, s45, v5, s3
	global_load_dword v6, v[6:7], off
	v_cmp_le_i32_e32 vcc_lo, s11, v3
	s_or_b32 s5, vcc_lo, s5
	s_waitcnt vmcnt(0)
	v_mul_f32_e32 v6, v18, v6
	v_cmp_nle_f32_e64 s3, |v6|, v19
	v_cndmask_b32_e64 v6, 0, 1, s3
	global_store_dword v[4:5], v6, off offset:8
	s_andn2_b32 exec_lo, exec_lo, s5
	s_cbranch_execnz .LBB7_34
.LBB7_35:                               ;   in Loop: Header=BB7_6 Depth=1
	s_or_b32 exec_lo, exec_lo, s4
	s_and_b32 s3, s11, 0x80000001
	s_waitcnt_vscnt null, 0x0
	s_cmp_eq_u32 s3, 1
	s_barrier
	s_cselect_b32 s3, -1, 0
	buffer_gl0_inv
	s_cmp_lg_u32 s3, 0
	s_addc_u32 s5, s11, 0
	s_cmp_lt_i32 s5, 2
	s_cbranch_scc1 .LBB7_73
; %bb.36:                               ;   in Loop: Header=BB7_6 Depth=1
	s_lshr_b32 s3, s5, 31
	s_add_i32 s18, s5, -1
	s_add_i32 s3, s5, s3
	s_add_i32 s20, s5, -2
	s_ashr_i32 s17, s3, 1
	s_mov_b32 s21, 0
	v_cmp_gt_i32_e64 s3, s17, v0
	s_add_i32 s19, s17, -1
	s_branch .LBB7_38
.LBB7_37:                               ;   in Loop: Header=BB7_38 Depth=2
	s_or_b32 exec_lo, exec_lo, s22
	s_add_i32 s21, s21, 1
	s_cmp_eq_u32 s21, s18
	s_cbranch_scc1 .LBB7_73
.LBB7_38:                               ;   Parent Loop BB7_6 Depth=1
                                        ; =>  This Loop Header: Depth=2
                                        ;       Child Loop BB7_41 Depth 3
                                        ;         Child Loop BB7_72 Depth 4
	s_and_saveexec_b32 s22, s3
	s_cbranch_execz .LBB7_37
; %bb.39:                               ;   in Loop: Header=BB7_38 Depth=2
	v_mov_b32_e32 v20, v0
	s_mov_b32 s23, 0
	s_branch .LBB7_41
.LBB7_40:                               ;   in Loop: Header=BB7_41 Depth=3
	s_or_b32 exec_lo, exec_lo, s24
	v_add_nc_u32_e32 v20, s53, v20
	s_waitcnt_vscnt null, 0x0
	s_barrier
	buffer_gl0_inv
	v_cmp_le_i32_e32 vcc_lo, s17, v20
	s_or_b32 s23, vcc_lo, s23
	s_andn2_b32 exec_lo, exec_lo, s23
	s_cbranch_execz .LBB7_37
.LBB7_41:                               ;   Parent Loop BB7_6 Depth=1
                                        ;     Parent Loop BB7_38 Depth=2
                                        ; =>    This Loop Header: Depth=3
                                        ;         Child Loop BB7_72 Depth 4
	v_mov_b32_e32 v5, 0
	s_mov_b32 s4, exec_lo
	v_cmpx_ne_u32_e32 0, v20
	s_cbranch_execz .LBB7_49
; %bb.42:                               ;   in Loop: Header=BB7_41 Depth=3
	v_subrev_nc_u32_e32 v3, s21, v20
	s_mov_b32 s24, exec_lo
	v_lshlrev_b32_e32 v5, 1, v3
	v_cmpx_ge_u32_e64 s21, v20
	s_cbranch_execz .LBB7_48
; %bb.43:                               ;   in Loop: Header=BB7_41 Depth=3
	v_add_nc_u32_e32 v4, s19, v20
	s_mov_b32 s25, exec_lo
	v_cmpx_le_i32_e64 s21, v4
	s_xor_b32 s25, exec_lo, s25
; %bb.44:                               ;   in Loop: Header=BB7_41 Depth=3
	v_sub_nc_u32_e32 v5, 1, v5
                                        ; implicit-def: $vgpr3
; %bb.45:                               ;   in Loop: Header=BB7_41 Depth=3
	s_andn2_saveexec_b32 s25, s25
; %bb.46:                               ;   in Loop: Header=BB7_41 Depth=3
	v_add_lshl_u32 v5, v3, s18, 1
; %bb.47:                               ;   in Loop: Header=BB7_41 Depth=3
	s_or_b32 exec_lo, exec_lo, s25
.LBB7_48:                               ;   in Loop: Header=BB7_41 Depth=3
	s_or_b32 exec_lo, exec_lo, s24
.LBB7_49:                               ;   in Loop: Header=BB7_41 Depth=3
	s_or_b32 exec_lo, exec_lo, s4
	v_sub_nc_u32_e32 v4, s17, v20
	v_add_nc_u32_e32 v3, s21, v20
	s_mov_b32 s4, exec_lo
                                        ; implicit-def: $vgpr6
	v_cmpx_ge_i32_e64 s21, v4
	s_xor_b32 s4, exec_lo, s4
	s_cbranch_execz .LBB7_55
; %bb.50:                               ;   in Loop: Header=BB7_41 Depth=3
	v_sub_nc_u32_e32 v4, s20, v20
	s_mov_b32 s24, exec_lo
                                        ; implicit-def: $vgpr6
	v_cmpx_le_i32_e64 s21, v4
	s_xor_b32 s24, exec_lo, s24
; %bb.51:                               ;   in Loop: Header=BB7_41 Depth=3
	v_sub_nc_u32_e32 v3, s18, v3
	v_lshlrev_b32_e32 v6, 1, v3
                                        ; implicit-def: $vgpr3
; %bb.52:                               ;   in Loop: Header=BB7_41 Depth=3
	s_andn2_saveexec_b32 s24, s24
; %bb.53:                               ;   in Loop: Header=BB7_41 Depth=3
	v_subrev_nc_u32_e32 v3, s5, v3
	v_lshl_add_u32 v6, v3, 1, 3
; %bb.54:                               ;   in Loop: Header=BB7_41 Depth=3
	s_or_b32 exec_lo, exec_lo, s24
                                        ; implicit-def: $vgpr3
.LBB7_55:                               ;   in Loop: Header=BB7_41 Depth=3
	s_andn2_saveexec_b32 s4, s4
; %bb.56:                               ;   in Loop: Header=BB7_41 Depth=3
	v_lshl_or_b32 v6, v3, 1, 1
; %bb.57:                               ;   in Loop: Header=BB7_41 Depth=3
	s_or_b32 exec_lo, exec_lo, s4
	v_min_i32_e32 v3, v5, v6
	s_mov_b32 s24, exec_lo
	v_add_nc_u32_e32 v3, s16, v3
	v_ashrrev_i32_e32 v4, 31, v3
	v_lshlrev_b64 v[7:8], 2, v[3:4]
	v_add_co_u32 v9, vcc_lo, s44, v7
	v_add_co_ci_u32_e64 v10, null, s45, v8, vcc_lo
	global_load_dword v4, v[9:10], off offset:8
	s_waitcnt vmcnt(0)
	v_cmpx_eq_u32_e32 1, v4
	s_cbranch_execz .LBB7_40
; %bb.58:                               ;   in Loop: Header=BB7_41 Depth=3
	v_max_i32_e32 v21, v5, v6
	v_add_nc_u32_e32 v4, s16, v21
	v_cmp_gt_i32_e64 s4, s11, v21
	v_ashrrev_i32_e32 v5, 31, v4
	v_lshlrev_b64 v[5:6], 2, v[4:5]
	v_add_co_u32 v9, vcc_lo, s44, v5
	v_add_co_ci_u32_e64 v10, null, s45, v6, vcc_lo
	global_load_dword v22, v[9:10], off offset:8
	s_waitcnt vmcnt(0)
	v_cmp_eq_u32_e32 vcc_lo, 1, v22
	s_and_b32 s4, vcc_lo, s4
	s_and_b32 exec_lo, exec_lo, s4
	s_cbranch_execz .LBB7_40
; %bb.59:                               ;   in Loop: Header=BB7_41 Depth=3
	v_add_co_u32 v21, vcc_lo, s27, v7
	v_add_co_ci_u32_e64 v22, null, s40, v8, vcc_lo
	v_add_co_u32 v23, vcc_lo, s27, v5
	v_add_co_ci_u32_e64 v24, null, s40, v6, vcc_lo
	s_clause 0x1
	global_load_dword v21, v[21:22], off
	global_load_dword v22, v[23:24], off
	s_waitcnt vmcnt(0)
	v_sub_f32_e32 v21, v21, v22
	v_cmp_le_f32_e64 s4, |v21|, v19
	s_and_b32 exec_lo, exec_lo, s4
	s_cbranch_execz .LBB7_40
; %bb.60:                               ;   in Loop: Header=BB7_41 Depth=3
	v_add_co_u32 v5, vcc_lo, s48, v5
	v_add_co_ci_u32_e64 v6, null, s49, v6, vcc_lo
	v_add_co_u32 v7, vcc_lo, s48, v7
	v_add_co_ci_u32_e64 v8, null, s49, v8, vcc_lo
	global_load_dword v22, v[5:6], off
	v_mov_b32_e32 v23, 0
	v_mov_b32_e32 v24, 1.0
	global_load_dword v21, v[7:8], off
	s_mov_b32 s25, exec_lo
	global_store_dword v[9:10], v11, off offset:8
	s_waitcnt vmcnt(1)
	v_cmpx_neq_f32_e32 0, v22
	s_cbranch_execz .LBB7_70
; %bb.61:                               ;   in Loop: Header=BB7_41 Depth=3
	v_xor_b32_e32 v9, 0x80000000, v22
                                        ; implicit-def: $vgpr23
                                        ; implicit-def: $vgpr24
	s_mov_b32 s4, exec_lo
	s_waitcnt vmcnt(0)
	v_cmpx_neq_f32_e32 0, v21
	s_xor_b32 s62, exec_lo, s4
	s_cbranch_execz .LBB7_67
; %bb.62:                               ;   in Loop: Header=BB7_41 Depth=3
	s_mov_b32 s63, exec_lo
                                        ; implicit-def: $vgpr23
                                        ; implicit-def: $vgpr24
	v_cmpx_ngt_f32_e64 |v22|, |v21|
	s_xor_b32 s63, exec_lo, s63
	s_cbranch_execz .LBB7_64
; %bb.63:                               ;   in Loop: Header=BB7_41 Depth=3
	v_div_scale_f32 v9, null, v21, v21, -v22
	v_div_scale_f32 v24, vcc_lo, -v22, v21, -v22
	v_rcp_f32_e32 v10, v9
	v_fma_f32 v23, -v9, v10, 1.0
	v_fmac_f32_e32 v10, v23, v10
	v_mul_f32_e32 v23, v24, v10
	v_fma_f32 v25, -v9, v23, v24
	v_fmac_f32_e32 v23, v25, v10
	v_fma_f32 v9, -v9, v23, v24
	v_div_fmas_f32 v9, v9, v10, v23
	v_div_fixup_f32 v9, v9, v21, -v22
	v_fma_f32 v10, v9, v9, 1.0
	v_mul_f32_e32 v23, 0x4f800000, v10
	v_cmp_gt_f32_e32 vcc_lo, 0xf800000, v10
	v_cndmask_b32_e32 v10, v10, v23, vcc_lo
	v_sqrt_f32_e32 v23, v10
	v_add_nc_u32_e32 v24, -1, v23
	v_add_nc_u32_e32 v25, 1, v23
	v_fma_f32 v26, -v24, v23, v10
	v_fma_f32 v27, -v25, v23, v10
	v_cmp_ge_f32_e64 s4, 0, v26
	v_cndmask_b32_e64 v23, v23, v24, s4
	v_cmp_lt_f32_e64 s4, 0, v27
	v_cndmask_b32_e64 v23, v23, v25, s4
	v_mul_f32_e32 v24, 0x37800000, v23
	v_cndmask_b32_e32 v23, v23, v24, vcc_lo
	v_cmp_class_f32_e64 vcc_lo, v10, 0x260
	v_cndmask_b32_e32 v10, v23, v10, vcc_lo
	v_div_scale_f32 v23, null, v10, v10, 1.0
	v_rcp_f32_e32 v24, v23
	v_fma_f32 v25, -v23, v24, 1.0
	v_fmac_f32_e32 v24, v25, v24
	v_div_scale_f32 v25, vcc_lo, 1.0, v10, 1.0
	v_mul_f32_e32 v26, v25, v24
	v_fma_f32 v27, -v23, v26, v25
	v_fmac_f32_e32 v26, v27, v24
	v_fma_f32 v23, -v23, v26, v25
	v_div_fmas_f32 v23, v23, v24, v26
	v_div_fixup_f32 v24, v23, v10, 1.0
	v_mul_f32_e32 v23, v9, v24
.LBB7_64:                               ;   in Loop: Header=BB7_41 Depth=3
	s_andn2_saveexec_b32 s63, s63
	s_cbranch_execz .LBB7_66
; %bb.65:                               ;   in Loop: Header=BB7_41 Depth=3
	v_div_scale_f32 v9, null, v22, v22, -v21
	v_div_scale_f32 v24, vcc_lo, -v21, v22, -v21
	v_rcp_f32_e32 v10, v9
	v_fma_f32 v23, -v9, v10, 1.0
	v_fmac_f32_e32 v10, v23, v10
	v_mul_f32_e32 v23, v24, v10
	v_fma_f32 v25, -v9, v23, v24
	v_fmac_f32_e32 v23, v25, v10
	v_fma_f32 v9, -v9, v23, v24
	v_div_fmas_f32 v9, v9, v10, v23
	v_div_fixup_f32 v9, v9, v22, -v21
	v_fma_f32 v10, v9, v9, 1.0
	v_mul_f32_e32 v23, 0x4f800000, v10
	v_cmp_gt_f32_e32 vcc_lo, 0xf800000, v10
	v_cndmask_b32_e32 v10, v10, v23, vcc_lo
	v_sqrt_f32_e32 v23, v10
	v_add_nc_u32_e32 v24, -1, v23
	v_add_nc_u32_e32 v25, 1, v23
	v_fma_f32 v26, -v24, v23, v10
	v_fma_f32 v27, -v25, v23, v10
	v_cmp_ge_f32_e64 s4, 0, v26
	v_cndmask_b32_e64 v23, v23, v24, s4
	v_cmp_lt_f32_e64 s4, 0, v27
	v_cndmask_b32_e64 v23, v23, v25, s4
	v_mul_f32_e32 v24, 0x37800000, v23
	v_cndmask_b32_e32 v23, v23, v24, vcc_lo
	v_cmp_class_f32_e64 vcc_lo, v10, 0x260
	v_cndmask_b32_e32 v10, v23, v10, vcc_lo
	v_div_scale_f32 v23, null, v10, v10, 1.0
	v_rcp_f32_e32 v24, v23
	v_fma_f32 v25, -v23, v24, 1.0
	v_fmac_f32_e32 v24, v25, v24
	v_div_scale_f32 v25, vcc_lo, 1.0, v10, 1.0
	v_mul_f32_e32 v26, v25, v24
	v_fma_f32 v27, -v23, v26, v25
	v_fmac_f32_e32 v26, v27, v24
	v_fma_f32 v23, -v23, v26, v25
	v_div_fmas_f32 v23, v23, v24, v26
	v_div_fixup_f32 v23, v23, v10, 1.0
	v_mul_f32_e32 v24, v9, v23
.LBB7_66:                               ;   in Loop: Header=BB7_41 Depth=3
	s_or_b32 exec_lo, exec_lo, s63
	v_mul_f32_e32 v9, v22, v23
	v_fma_f32 v9, v21, v24, -v9
.LBB7_67:                               ;   in Loop: Header=BB7_41 Depth=3
	s_andn2_saveexec_b32 s4, s62
; %bb.68:                               ;   in Loop: Header=BB7_41 Depth=3
	v_mov_b32_e32 v24, 0
	v_mov_b32_e32 v23, 1.0
; %bb.69:                               ;   in Loop: Header=BB7_41 Depth=3
	s_or_b32 exec_lo, exec_lo, s4
	v_mov_b32_e32 v21, v9
.LBB7_70:                               ;   in Loop: Header=BB7_41 Depth=3
	s_or_b32 exec_lo, exec_lo, s25
	s_andn2_b32 vcc_lo, exec_lo, s58
	s_waitcnt vmcnt(0)
	global_store_dword v[7:8], v21, off
	global_store_dword v[5:6], v11, off
	s_cbranch_vccnz .LBB7_40
; %bb.71:                               ;   in Loop: Header=BB7_41 Depth=3
	v_mul_lo_u32 v4, v4, s31
	v_mul_lo_u32 v6, v3, s31
	s_mov_b32 s4, s29
	v_ashrrev_i32_e32 v5, 31, v4
	v_ashrrev_i32_e32 v7, 31, v6
	v_lshlrev_b64 v[3:4], 2, v[4:5]
	v_lshlrev_b64 v[5:6], 2, v[6:7]
	v_add_co_u32 v3, vcc_lo, s12, v3
	v_add_co_ci_u32_e64 v4, null, s13, v4, vcc_lo
	v_add_co_u32 v5, vcc_lo, s12, v5
	v_add_co_ci_u32_e64 v6, null, s13, v6, vcc_lo
	.p2align	6
.LBB7_72:                               ;   Parent Loop BB7_6 Depth=1
                                        ;     Parent Loop BB7_38 Depth=2
                                        ;       Parent Loop BB7_41 Depth=3
                                        ; =>      This Inner Loop Header: Depth=4
	global_load_dword v7, v[3:4], off
	global_load_dword v8, v[5:6], off
	s_add_i32 s4, s4, -1
	s_cmp_lg_u32 s4, 0
	s_waitcnt vmcnt(1)
	v_mul_f32_e32 v9, v23, v7
	v_mul_f32_e32 v7, v24, v7
	s_waitcnt vmcnt(0)
	v_fma_f32 v9, v24, v8, -v9
	v_fmac_f32_e32 v7, v23, v8
	global_store_dword v[5:6], v9, off
	global_store_dword v[3:4], v7, off
	v_add_co_u32 v3, vcc_lo, v3, 4
	v_add_co_ci_u32_e64 v4, null, 0, v4, vcc_lo
	v_add_co_u32 v5, vcc_lo, v5, 4
	v_add_co_ci_u32_e64 v6, null, 0, v6, vcc_lo
	s_cbranch_scc1 .LBB7_72
	s_branch .LBB7_40
.LBB7_73:                               ;   in Loop: Header=BB7_6 Depth=1
	s_cmp_lt_i32 s11, 1
	s_cbranch_scc1 .LBB7_5
; %bb.74:                               ;   in Loop: Header=BB7_6 Depth=1
	s_mul_i32 s4, s16, s29
	v_cmp_gt_f32_e64 s3, 0, v18
	s_ashr_i32 s5, s4, 31
	s_mov_b32 s64, 0
	s_lshl_b64 s[4:5], s[4:5], 2
	s_mov_b32 s22, 0
	s_add_u32 s62, s50, s4
	s_addc_u32 s63, s51, s5
	s_ashr_i32 s17, s16, 31
	s_lshl_b64 s[20:21], s[16:17], 2
	s_add_u32 s4, s27, s20
	s_addc_u32 s5, s40, s21
	s_add_u32 s16, s48, s20
	s_addc_u32 s17, s49, s21
	;; [unrolled: 2-line block ×3, first 2 shown]
	s_add_u32 s20, s36, s20
	s_mov_b64 s[18:19], s[16:17]
	s_addc_u32 s21, s37, s21
	s_inst_prefetch 0x1
	s_branch .LBB7_77
	.p2align	6
.LBB7_75:                               ;   in Loop: Header=BB7_77 Depth=2
	s_or_b32 exec_lo, exec_lo, s67
	s_add_i32 s22, s22, 1
.LBB7_76:                               ;   in Loop: Header=BB7_77 Depth=2
	s_add_i32 s64, s64, 1
	s_add_u32 s20, s20, 4
	s_addc_u32 s21, s21, 0
	s_add_u32 s4, s4, 4
	s_addc_u32 s5, s5, 0
	;; [unrolled: 2-line block ×3, first 2 shown]
	s_cmp_lg_u32 s11, s64
	s_cbranch_scc0 .LBB7_5
.LBB7_77:                               ;   Parent Loop BB7_6 Depth=1
                                        ; =>  This Inner Loop Header: Depth=2
	global_load_dword v3, v11, s[20:21]
	s_waitcnt vmcnt(0)
	v_cmp_ne_u32_e32 vcc_lo, 1, v3
	s_cbranch_vccnz .LBB7_76
; %bb.78:                               ;   in Loop: Header=BB7_77 Depth=2
	s_and_saveexec_b32 s67, s0
	s_cbranch_execz .LBB7_75
; %bb.79:                               ;   in Loop: Header=BB7_77 Depth=2
	global_load_dword v3, v11, s[4:5]
	s_ashr_i32 s23, s22, 31
	v_mov_b32_e32 v4, s64
	s_lshl_b64 s[24:25], s[22:23], 2
	s_add_u32 s68, s65, s24
	s_addc_u32 s69, s66, s25
	s_add_u32 s70, s62, s24
	s_addc_u32 s71, s63, s25
	s_cmp_eq_u32 s64, s22
	s_waitcnt vmcnt(0)
	v_cndmask_b32_e64 v3, v3, -v3, s3
	global_store_dword v11, v4, s[68:69] offset:8
	global_store_dword v11, v3, s[70:71]
	s_cbranch_scc1 .LBB7_75
; %bb.80:                               ;   in Loop: Header=BB7_77 Depth=2
	global_load_dword v3, v11, s[18:19]
	s_add_u32 s24, s16, s24
	s_addc_u32 s25, s17, s25
	s_waitcnt vmcnt(0)
	global_store_dword v11, v3, s[24:25]
	s_branch .LBB7_75
.LBB7_81:
	s_endpgm
.LBB7_82:
                                        ; implicit-def: $sgpr12_sgpr13
                                        ; implicit-def: $sgpr0
	s_branch .LBB7_2
	.section	.rodata,"a",@progbits
	.p2align	6, 0x0
	.amdhsa_kernel _ZN9rocsolver6v33100L26stedcx_mergePrepare_kernelIfEEviiPT_lS3_lS3_iilS3_S3_PiS2_
		.amdhsa_group_segment_fixed_size 0
		.amdhsa_private_segment_fixed_size 0
		.amdhsa_kernarg_size 352
		.amdhsa_user_sgpr_count 6
		.amdhsa_user_sgpr_private_segment_buffer 1
		.amdhsa_user_sgpr_dispatch_ptr 0
		.amdhsa_user_sgpr_queue_ptr 0
		.amdhsa_user_sgpr_kernarg_segment_ptr 1
		.amdhsa_user_sgpr_dispatch_id 0
		.amdhsa_user_sgpr_flat_scratch_init 0
		.amdhsa_user_sgpr_private_segment_size 0
		.amdhsa_wavefront_size32 1
		.amdhsa_uses_dynamic_stack 0
		.amdhsa_system_sgpr_private_segment_wavefront_offset 0
		.amdhsa_system_sgpr_workgroup_id_x 1
		.amdhsa_system_sgpr_workgroup_id_y 1
		.amdhsa_system_sgpr_workgroup_id_z 1
		.amdhsa_system_sgpr_workgroup_info 0
		.amdhsa_system_vgpr_workitem_id 0
		.amdhsa_next_free_vgpr 31
		.amdhsa_next_free_sgpr 72
		.amdhsa_reserve_vcc 1
		.amdhsa_reserve_flat_scratch 0
		.amdhsa_float_round_mode_32 0
		.amdhsa_float_round_mode_16_64 0
		.amdhsa_float_denorm_mode_32 3
		.amdhsa_float_denorm_mode_16_64 3
		.amdhsa_dx10_clamp 1
		.amdhsa_ieee_mode 1
		.amdhsa_fp16_overflow 0
		.amdhsa_workgroup_processor_mode 1
		.amdhsa_memory_ordered 1
		.amdhsa_forward_progress 1
		.amdhsa_shared_vgpr_count 0
		.amdhsa_exception_fp_ieee_invalid_op 0
		.amdhsa_exception_fp_denorm_src 0
		.amdhsa_exception_fp_ieee_div_zero 0
		.amdhsa_exception_fp_ieee_overflow 0
		.amdhsa_exception_fp_ieee_underflow 0
		.amdhsa_exception_fp_ieee_inexact 0
		.amdhsa_exception_int_div_zero 0
	.end_amdhsa_kernel
	.section	.text._ZN9rocsolver6v33100L26stedcx_mergePrepare_kernelIfEEviiPT_lS3_lS3_iilS3_S3_PiS2_,"axG",@progbits,_ZN9rocsolver6v33100L26stedcx_mergePrepare_kernelIfEEviiPT_lS3_lS3_iilS3_S3_PiS2_,comdat
.Lfunc_end7:
	.size	_ZN9rocsolver6v33100L26stedcx_mergePrepare_kernelIfEEviiPT_lS3_lS3_iilS3_S3_PiS2_, .Lfunc_end7-_ZN9rocsolver6v33100L26stedcx_mergePrepare_kernelIfEEviiPT_lS3_lS3_iilS3_S3_PiS2_
                                        ; -- End function
	.set _ZN9rocsolver6v33100L26stedcx_mergePrepare_kernelIfEEviiPT_lS3_lS3_iilS3_S3_PiS2_.num_vgpr, 31
	.set _ZN9rocsolver6v33100L26stedcx_mergePrepare_kernelIfEEviiPT_lS3_lS3_iilS3_S3_PiS2_.num_agpr, 0
	.set _ZN9rocsolver6v33100L26stedcx_mergePrepare_kernelIfEEviiPT_lS3_lS3_iilS3_S3_PiS2_.numbered_sgpr, 72
	.set _ZN9rocsolver6v33100L26stedcx_mergePrepare_kernelIfEEviiPT_lS3_lS3_iilS3_S3_PiS2_.num_named_barrier, 0
	.set _ZN9rocsolver6v33100L26stedcx_mergePrepare_kernelIfEEviiPT_lS3_lS3_iilS3_S3_PiS2_.private_seg_size, 0
	.set _ZN9rocsolver6v33100L26stedcx_mergePrepare_kernelIfEEviiPT_lS3_lS3_iilS3_S3_PiS2_.uses_vcc, 1
	.set _ZN9rocsolver6v33100L26stedcx_mergePrepare_kernelIfEEviiPT_lS3_lS3_iilS3_S3_PiS2_.uses_flat_scratch, 0
	.set _ZN9rocsolver6v33100L26stedcx_mergePrepare_kernelIfEEviiPT_lS3_lS3_iilS3_S3_PiS2_.has_dyn_sized_stack, 0
	.set _ZN9rocsolver6v33100L26stedcx_mergePrepare_kernelIfEEviiPT_lS3_lS3_iilS3_S3_PiS2_.has_recursion, 0
	.set _ZN9rocsolver6v33100L26stedcx_mergePrepare_kernelIfEEviiPT_lS3_lS3_iilS3_S3_PiS2_.has_indirect_call, 0
	.section	.AMDGPU.csdata,"",@progbits
; Kernel info:
; codeLenInByte = 4088
; TotalNumSgprs: 74
; NumVgprs: 31
; ScratchSize: 0
; MemoryBound: 0
; FloatMode: 240
; IeeeMode: 1
; LDSByteSize: 0 bytes/workgroup (compile time only)
; SGPRBlocks: 0
; VGPRBlocks: 3
; NumSGPRsForWavesPerEU: 74
; NumVGPRsForWavesPerEU: 31
; Occupancy: 16
; WaveLimiterHint : 1
; COMPUTE_PGM_RSRC2:SCRATCH_EN: 0
; COMPUTE_PGM_RSRC2:USER_SGPR: 6
; COMPUTE_PGM_RSRC2:TRAP_HANDLER: 0
; COMPUTE_PGM_RSRC2:TGID_X_EN: 1
; COMPUTE_PGM_RSRC2:TGID_Y_EN: 1
; COMPUTE_PGM_RSRC2:TGID_Z_EN: 1
; COMPUTE_PGM_RSRC2:TIDIG_COMP_CNT: 0
	.section	.text._ZN9rocsolver6v33100L25stedcx_mergeValues_kernelIfEEviiPT_lS3_lS3_S3_PiS2_S2_S2_,"axG",@progbits,_ZN9rocsolver6v33100L25stedcx_mergeValues_kernelIfEEviiPT_lS3_lS3_S3_PiS2_S2_S2_,comdat
	.globl	_ZN9rocsolver6v33100L25stedcx_mergeValues_kernelIfEEviiPT_lS3_lS3_S3_PiS2_S2_S2_ ; -- Begin function _ZN9rocsolver6v33100L25stedcx_mergeValues_kernelIfEEviiPT_lS3_lS3_S3_PiS2_S2_S2_
	.p2align	8
	.type	_ZN9rocsolver6v33100L25stedcx_mergeValues_kernelIfEEviiPT_lS3_lS3_S3_PiS2_S2_S2_,@function
_ZN9rocsolver6v33100L25stedcx_mergeValues_kernelIfEEviiPT_lS3_lS3_S3_PiS2_S2_S2_: ; @_ZN9rocsolver6v33100L25stedcx_mergeValues_kernelIfEEviiPT_lS3_lS3_S3_PiS2_S2_S2_
; %bb.0:
	s_clause 0x1
	s_load_dwordx2 s[20:21], s[4:5], 0x0
	s_load_dwordx2 s[30:31], s[4:5], 0x38
	s_waitcnt lgkmcnt(0)
	s_mul_i32 s0, s21, 5
	s_mov_b32 s22, s21
	s_add_i32 s0, s0, 2
	s_mul_i32 s0, s0, s8
	s_ashr_i32 s1, s0, 31
	s_lshl_b64 s[34:35], s[0:1], 2
	s_add_u32 s33, s30, s34
	s_addc_u32 s44, s31, s35
	s_ashr_i32 s23, s21, 31
	s_lshl_b64 s[24:25], s[22:23], 2
	s_add_u32 s26, s33, s24
	s_addc_u32 s27, s44, s25
	s_load_dword s45, s[26:27], 0x4
	s_waitcnt lgkmcnt(0)
	s_cmp_ge_i32 s7, s45
	s_cbranch_scc1 .LBB8_250
; %bb.1:
	s_clause 0x2
	s_load_dwordx8 s[12:19], s[4:5], 0x8
	s_load_dwordx4 s[0:3], s[4:5], 0x28
	s_load_dword s46, s[4:5], 0x40
	s_mov_b32 s10, s7
	s_ashr_i32 s7, s8, 31
                                        ; implicit-def: $vgpr52 : SGPR spill to VGPR lane
	s_mul_i32 s28, s21, s21
	s_mov_b32 s29, 0
	v_mul_lo_u32 v28, v0, s22
	v_lshlrev_b32_e32 v24, 1, v0
	v_cvt_f32_u32_e32 v25, v0
	v_add_nc_u32_e32 v26, s22, v0
	v_lshlrev_b32_e32 v27, 2, v0
	v_mov_b32_e32 v2, 0
	s_waitcnt lgkmcnt(0)
	s_mul_hi_u32 s9, s14, s8
	s_mul_i32 s11, s14, s7
	s_mul_i32 s15, s15, s8
	s_add_i32 s9, s9, s11
	s_mul_i32 s14, s14, s8
	s_add_i32 s15, s9, s15
	s_mul_hi_u32 s11, s18, s8
	s_lshl_b64 s[14:15], s[14:15], 2
	s_mul_i32 s7, s18, s7
	s_add_u32 s47, s12, s14
	s_mul_i32 s9, s19, s8
	s_addc_u32 s48, s13, s15
	s_add_i32 s7, s11, s7
	s_mul_i32 s12, s18, s8
	s_add_i32 s13, s7, s9
	s_mul_hi_i32 s11, s22, 12
	s_lshl_b64 s[12:13], s[12:13], 2
	s_add_u32 s49, s16, s12
	s_addc_u32 s50, s17, s13
	s_add_u32 s51, s26, s24
	s_addc_u32 s52, s27, s25
	;; [unrolled: 2-line block ×4, first 2 shown]
	v_writelane_b32 v52, s7, 0
	s_lshl_b32 s7, s8, 1
	s_mul_i32 s8, s7, s21
	s_mul_i32 s12, s7, s28
	s_ashr_i32 s9, s8, 31
	s_mul_i32 s7, s22, 12
	s_lshl_b64 s[8:9], s[8:9], 2
	s_add_u32 s57, s0, s8
	s_addc_u32 s58, s1, s9
	s_add_u32 s59, s57, s24
	s_addc_u32 s60, s58, s25
	s_ashr_i32 s13, s12, 31
	s_lshl_b64 s[0:1], s[12:13], 2
	s_add_u32 s12, s2, s0
	s_addc_u32 s13, s3, s1
	s_lshl_b64 s[8:9], s[28:29], 2
	s_add_u32 s61, s12, s8
	s_addc_u32 s62, s13, s9
	s_not_b32 s63, s20
	s_lshl_b32 s14, 1, s20
	s_lshl_b32 s69, 2, s20
	s_add_u32 s12, s4, 0x50
	s_addc_u32 s13, s5, 0
	s_cmp_gt_i32 s14, 1
	s_mul_i32 s14, s69, s6
	s_cselect_b32 s64, -1, 0
	s_ashr_i32 s15, s14, 31
	s_cmp_gt_i32 s69, 1
	s_cselect_b32 s65, -1, 0
	s_add_u32 s4, s24, s34
	s_addc_u32 s5, s25, s35
	s_add_u32 s16, s30, s4
	s_addc_u32 s17, s31, s5
	;; [unrolled: 2-line block ×3, first 2 shown]
	s_lshl_b64 s[16:17], s[14:15], 2
	s_add_u32 s4, s4, s16
	s_addc_u32 s5, s5, s17
	s_add_u32 s4, s30, s4
	s_addc_u32 s5, s31, s5
	;; [unrolled: 2-line block ×3, first 2 shown]
	s_add_i32 s69, s69, -1
	s_add_u32 s4, s7, s34
	s_addc_u32 s5, s11, s35
	s_add_u32 s4, s30, s4
	s_addc_u32 s5, s31, s5
	;; [unrolled: 2-line block ×3, first 2 shown]
	s_lshl_b64 s[4:5], s[22:23], 4
	s_add_u32 s4, s4, s34
	s_addc_u32 s5, s5, s35
	s_add_u32 s23, s30, s4
	s_addc_u32 s72, s31, s5
	;; [unrolled: 2-line block ×5, first 2 shown]
	s_branch .LBB8_4
.LBB8_2:                                ;   in Loop: Header=BB8_4 Depth=1
	s_or_b32 exec_lo, exec_lo, s7
.LBB8_3:                                ;   in Loop: Header=BB8_4 Depth=1
	s_add_i32 s10, s10, 8
	s_cmp_ge_i32 s10, s45
	s_cbranch_scc1 .LBB8_250
.LBB8_4:                                ; =>This Loop Header: Depth=1
                                        ;     Child Loop BB8_12 Depth 2
                                        ;     Child Loop BB8_19 Depth 2
	;; [unrolled: 1-line block ×4, first 2 shown]
                                        ;       Child Loop BB8_29 Depth 3
                                        ;     Child Loop BB8_34 Depth 2
                                        ;       Child Loop BB8_36 Depth 3
                                        ;     Child Loop BB8_40 Depth 2
                                        ;     Child Loop BB8_44 Depth 2
                                        ;       Child Loop BB8_49 Depth 3
                                        ;       Child Loop BB8_56 Depth 3
	;; [unrolled: 1-line block ×10, first 2 shown]
                                        ;         Child Loop BB8_162 Depth 4
                                        ;         Child Loop BB8_166 Depth 4
                                        ;       Child Loop BB8_172 Depth 3
                                        ;       Child Loop BB8_188 Depth 3
	;; [unrolled: 1-line block ×5, first 2 shown]
                                        ;         Child Loop BB8_232 Depth 4
                                        ;     Child Loop BB8_242 Depth 2
                                        ;       Child Loop BB8_246 Depth 3
	s_ashr_i32 s11, s10, 31
	s_lshl_b64 s[0:1], s[10:11], 2
	s_barrier
	s_add_u32 s0, s33, s0
	s_addc_u32 s1, s44, s1
	buffer_gl0_inv
	global_load_dwordx2 v[3:4], v2, s[0:1]
	s_mov_b32 s2, s29
	s_waitcnt vmcnt(0)
	v_readfirstlane_b32 s0, v3
	v_readfirstlane_b32 s1, v4
	s_sub_i32 s1, s1, s0
	s_cmp_lt_i32 s1, 3
	s_cbranch_scc1 .LBB8_9
; %bb.5:                                ;   in Loop: Header=BB8_4 Depth=1
	s_cmp_lt_u32 s1, 5
	s_mov_b32 s2, 1
	s_cbranch_scc1 .LBB8_9
; %bb.6:                                ;   in Loop: Header=BB8_4 Depth=1
	s_cmp_lt_u32 s1, 33
	s_mov_b32 s2, 2
	s_cbranch_scc1 .LBB8_9
; %bb.7:                                ;   in Loop: Header=BB8_4 Depth=1
	s_cmpk_lt_u32 s1, 0xe9
	s_mov_b32 s2, 4
	s_cbranch_scc1 .LBB8_9
; %bb.8:                                ;   in Loop: Header=BB8_4 Depth=1
	s_cmpk_lt_u32 s1, 0x128
	s_cselect_b32 s2, 5, 7
	s_cmpk_lt_u32 s1, 0x79b
	s_cselect_b32 s2, s2, 8
.LBB8_9:                                ;   in Loop: Header=BB8_4 Depth=1
	s_add_i32 s1, s2, s63
	s_lshl_b32 s2, 1, s1
	s_cmp_gt_i32 s1, -1
	s_cselect_b32 s1, s2, 0
	s_cmp_ge_i32 s6, s1
	s_cbranch_scc1 .LBB8_3
; %bb.10:                               ;   in Loop: Header=BB8_4 Depth=1
	s_load_dword s7, s[12:13], 0xc
	s_ashr_i32 s1, s0, 31
	s_lshl_b64 s[0:1], s[0:1], 2
	s_add_u32 s4, s26, s0
	s_addc_u32 s5, s27, s1
	s_add_u32 s2, s51, s0
	s_addc_u32 s3, s52, s1
	s_waitcnt lgkmcnt(0)
	s_bfe_u32 s8, s7, 0xf0001
	v_cvt_f32_u32_e32 v1, s8
	v_rcp_iflag_f32_e32 v3, v1
	v_mul_f32_e32 v3, v25, v3
	v_trunc_f32_e32 v3, v3
	v_fma_f32 v4, -v3, v1, v25
	v_cvt_u32_f32_e32 v3, v3
	v_cmp_ge_f32_e64 vcc_lo, |v4|, v1
	v_add_co_ci_u32_e64 v1, null, 0, v3, vcc_lo
	v_and_b32_e32 v1, 0x7fff, v1
	v_lshl_add_u32 v3, v1, s20, s14
	v_ashrrev_i32_e32 v4, 31, v3
	v_lshlrev_b64 v[4:5], 2, v[3:4]
	v_add_co_u32 v6, vcc_lo, s2, v4
	v_add_co_ci_u32_e64 v7, null, s3, v5, vcc_lo
	v_add_co_u32 v8, vcc_lo, s4, v4
	v_add_co_ci_u32_e64 v9, null, s5, v5, vcc_lo
	s_clause 0x1
	global_load_dword v3, v[6:7], off offset:8
	global_load_dword v1, v[8:9], off offset:8
	s_andn2_b32 vcc_lo, exec_lo, s64
	s_cbranch_vccnz .LBB8_13
; %bb.11:                               ;   in Loop: Header=BB8_4 Depth=1
	s_add_u32 s9, s66, s0
	s_addc_u32 s11, s67, s1
	v_add_co_u32 v4, vcc_lo, s9, v4
	v_add_co_ci_u32_e64 v5, null, s11, v5, vcc_lo
	s_bfm_b32 s9, s20, 0
.LBB8_12:                               ;   Parent Loop BB8_4 Depth=1
                                        ; =>  This Inner Loop Header: Depth=2
	global_load_dword v6, v[4:5], off
	v_add_co_u32 v4, vcc_lo, v4, 4
	v_add_co_ci_u32_e64 v5, null, 0, v5, vcc_lo
	s_add_i32 s9, s9, -1
	s_cmp_eq_u32 s9, 0
	s_waitcnt vmcnt(0)
	v_add_nc_u32_e32 v1, v6, v1
	s_cbranch_scc0 .LBB8_12
.LBB8_13:                               ;   in Loop: Header=BB8_4 Depth=1
	s_waitcnt vmcnt(1)
	v_ashrrev_i32_e32 v4, 31, v3
	s_and_b32 s11, s7, 0xffff
	s_mov_b32 s7, exec_lo
                                        ; implicit-def: $vgpr5_vgpr6
	v_cmpx_le_u32_e64 s8, v0
	s_xor_b32 s7, exec_lo, s7
	s_cbranch_execz .LBB8_15
; %bb.14:                               ;   in Loop: Header=BB8_4 Depth=1
	v_lshlrev_b64 v[3:4], 2, v[3:4]
	s_waitcnt vmcnt(0)
	v_add_co_u32 v1, vcc_lo, s49, v3
	v_add_co_ci_u32_e64 v3, null, s50, v4, vcc_lo
	v_add_co_u32 v5, vcc_lo, v1, -4
	v_add_co_ci_u32_e64 v6, null, -1, v3, vcc_lo
                                        ; implicit-def: $vgpr1
                                        ; implicit-def: $vgpr3
.LBB8_15:                               ;   in Loop: Header=BB8_4 Depth=1
	s_andn2_saveexec_b32 s7, s7
	s_cbranch_execz .LBB8_17
; %bb.16:                               ;   in Loop: Header=BB8_4 Depth=1
	s_waitcnt vmcnt(0)
	v_ashrrev_i32_e32 v5, 31, v1
	v_add_co_u32 v3, vcc_lo, v3, v1
	v_add_co_ci_u32_e64 v4, null, v4, v5, vcc_lo
	v_lshlrev_b64 v[3:4], 2, v[3:4]
	v_add_co_u32 v1, vcc_lo, s49, v3
	v_add_co_ci_u32_e64 v3, null, s50, v4, vcc_lo
	v_add_co_u32 v5, vcc_lo, v1, -4
	v_add_co_ci_u32_e64 v6, null, -1, v3, vcc_lo
.LBB8_17:                               ;   in Loop: Header=BB8_4 Depth=1
	s_or_b32 exec_lo, exec_lo, s7
	s_add_u32 s4, s4, s16
	s_addc_u32 s5, s5, s17
	s_andn2_b32 vcc_lo, exec_lo, s65
	global_load_dword v1, v2, s[4:5] offset:8
	global_load_dword v7, v[5:6], off
	s_waitcnt vmcnt(1)
	v_readfirstlane_b32 s77, v1
	s_cbranch_vccnz .LBB8_20
; %bb.18:                               ;   in Loop: Header=BB8_4 Depth=1
	s_add_u32 s0, s15, s0
	s_addc_u32 s1, s68, s1
	s_mov_b32 s4, s69
.LBB8_19:                               ;   Parent Loop BB8_4 Depth=1
                                        ; =>  This Inner Loop Header: Depth=2
	global_load_dword v1, v2, s[0:1]
	s_waitcnt vmcnt(0)
	v_readfirstlane_b32 s5, v1
	s_add_i32 s77, s5, s77
	s_add_u32 s0, s0, 4
	s_addc_u32 s1, s1, 0
	s_add_i32 s4, s4, -1
	s_cmp_eq_u32 s4, 0
	s_cbranch_scc0 .LBB8_19
.LBB8_20:                               ;   in Loop: Header=BB8_4 Depth=1
	s_add_u32 s0, s2, s16
	s_addc_u32 s1, s3, s17
	s_mov_b32 s18, 0
	global_load_dword v1, v2, s[0:1] offset:8
	s_waitcnt vmcnt(0)
	v_readfirstlane_b32 s4, v1
	s_ashr_i32 s5, s4, 31
	s_cmp_gt_i32 s77, 0
	s_cselect_b32 s78, -1, 0
	s_cmp_lt_i32 s77, 1
	s_cbranch_scc1 .LBB8_23
; %bb.21:                               ;   in Loop: Header=BB8_4 Depth=1
	s_lshl_b64 s[0:1], s[4:5], 2
	s_mov_b32 s2, s77
	s_add_u32 s0, s70, s0
	s_addc_u32 s1, s71, s1
.LBB8_22:                               ;   Parent Loop BB8_4 Depth=1
                                        ; =>  This Inner Loop Header: Depth=2
	global_load_dword v1, v2, s[0:1]
	s_waitcnt vmcnt(0)
	v_readfirstlane_b32 s3, v1
	s_cmp_eq_u32 s3, 1
	s_cselect_b32 s3, -1, 0
	s_cmp_lg_u32 s3, 0
	s_addc_u32 s18, s18, 0
	s_add_i32 s2, s2, -1
	s_add_u32 s0, s0, 4
	s_addc_u32 s1, s1, 0
	s_cmp_eq_u32 s2, 0
	s_cbranch_scc0 .LBB8_22
.LBB8_23:                               ;   in Loop: Header=BB8_4 Depth=1
	s_mul_i32 s0, s4, s22
	s_ashr_i32 s1, s0, 31
	s_cmp_eq_u32 s18, 0
	s_cbranch_scc1 .LBB8_31
; %bb.24:                               ;   in Loop: Header=BB8_4 Depth=1
	s_lshl_b64 s[2:3], s[4:5], 2
	s_add_i32 s7, s18, -1
	s_lshl_b32 s8, s11, 1
	s_add_u32 s9, s23, s2
	s_addc_u32 s19, s72, s3
	s_lshl_b32 s28, s11, 3
	s_add_u32 s30, s73, s2
	s_addc_u32 s31, s74, s3
	s_lshl_b64 s[2:3], s[0:1], 2
	s_mov_b32 s36, 0
	s_add_u32 s34, s75, s2
	s_addc_u32 s35, s76, s3
	s_mov_b32 s37, 0
	s_branch .LBB8_26
.LBB8_25:                               ;   in Loop: Header=BB8_26 Depth=2
	s_inst_prefetch 0x2
	s_or_b32 exec_lo, exec_lo, s38
	s_add_i32 s36, s36, 1
	s_xor_b32 s37, s37, -1
	s_cmp_eq_u32 s36, s18
	s_waitcnt_vscnt null, 0x0
	s_barrier
	buffer_gl0_inv
	s_cbranch_scc1 .LBB8_31
.LBB8_26:                               ;   Parent Loop BB8_4 Depth=1
                                        ; =>  This Loop Header: Depth=2
                                        ;       Child Loop BB8_29 Depth 3
	v_and_or_b32 v1, s36, 1, v24
	s_mov_b32 s38, exec_lo
	v_cmpx_gt_i32_e64 s7, v1
	s_cbranch_execz .LBB8_25
; %bb.27:                               ;   in Loop: Header=BB8_26 Depth=2
	v_cndmask_b32_e64 v3, 0, 1, s37
	s_mov_b32 s21, 0
	v_add_lshl_u32 v3, v24, v3, 2
	v_add_co_u32 v8, s2, s9, v3
	v_add_co_ci_u32_e64 v9, null, s19, 0, s2
	v_add_co_u32 v10, s2, s30, v3
	v_add_co_ci_u32_e64 v11, null, s31, 0, s2
	;; [unrolled: 2-line block ×3, first 2 shown]
	s_mov_b64 s[2:3], 0
	s_inst_prefetch 0x1
	s_branch .LBB8_29
	.p2align	6
.LBB8_28:                               ;   in Loop: Header=BB8_29 Depth=3
	s_or_b32 exec_lo, exec_lo, s39
	v_add_nc_u32_e32 v1, s8, v1
	s_add_u32 s2, s2, s28
	s_addc_u32 s3, s3, 0
	v_cmp_le_i32_e32 vcc_lo, s7, v1
	s_or_b32 s21, vcc_lo, s21
	s_andn2_b32 exec_lo, exec_lo, s21
	s_cbranch_execz .LBB8_25
.LBB8_29:                               ;   Parent Loop BB8_4 Depth=1
                                        ;     Parent Loop BB8_26 Depth=2
                                        ; =>    This Inner Loop Header: Depth=3
	v_add_co_u32 v3, vcc_lo, v12, s2
	v_add_co_ci_u32_e64 v4, null, s3, v13, vcc_lo
	s_mov_b32 s39, exec_lo
	global_load_dwordx2 v[5:6], v[3:4], off
	s_waitcnt vmcnt(0)
	v_cmpx_gt_f32_e32 v5, v6
	s_cbranch_execz .LBB8_28
; %bb.30:                               ;   in Loop: Header=BB8_29 Depth=3
	v_mov_b32_e32 v15, v5
	v_add_co_u32 v5, vcc_lo, v8, s2
	v_mov_b32_e32 v14, v6
	v_add_co_ci_u32_e64 v6, null, s3, v9, vcc_lo
	v_add_co_u32 v16, vcc_lo, v10, s2
	v_add_co_ci_u32_e64 v17, null, s3, v11, vcc_lo
	global_store_dwordx2 v[3:4], v[14:15], off
	global_load_dwordx2 v[3:4], v[5:6], off offset:8
	global_load_dwordx2 v[14:15], v[16:17], off offset:-4
	s_waitcnt vmcnt(1)
	v_mov_b32_e32 v18, v4
	s_waitcnt vmcnt(0)
	v_mov_b32_e32 v20, v15
	v_mov_b32_e32 v21, v14
	;; [unrolled: 1-line block ×3, first 2 shown]
	global_store_dwordx2 v[16:17], v[20:21], off offset:-4
	global_store_dwordx2 v[5:6], v[18:19], off offset:8
	s_branch .LBB8_28
.LBB8_31:                               ;   in Loop: Header=BB8_4 Depth=1
	s_lshl_b64 s[8:9], s[0:1], 2
	v_cmp_gt_u32_e64 s0, s18, v0
	s_add_u32 s79, s61, s8
	s_addc_u32 s80, s62, s9
	s_and_saveexec_b32 s2, s0
	s_cbranch_execz .LBB8_38
; %bb.32:                               ;   in Loop: Header=BB8_4 Depth=1
	s_mul_i32 s3, s77, s22
	v_mov_b32_e32 v3, v26
	s_cmp_lt_i32 s22, s3
	v_mov_b32_e32 v1, v0
	s_cselect_b32 s7, -1, 0
	s_add_u32 s19, s75, s8
	s_addc_u32 s28, s76, s9
	s_mov_b32 s30, 0
	s_inst_prefetch 0x1
	s_branch .LBB8_34
	.p2align	6
.LBB8_33:                               ;   in Loop: Header=BB8_34 Depth=2
	v_add_nc_u32_e32 v1, s11, v1
	v_add_nc_u32_e32 v3, s11, v3
	v_cmp_le_u32_e32 vcc_lo, s18, v1
	s_or_b32 s30, vcc_lo, s30
	s_andn2_b32 exec_lo, exec_lo, s30
	s_cbranch_execz .LBB8_38
.LBB8_34:                               ;   Parent Loop BB8_4 Depth=1
                                        ; =>  This Loop Header: Depth=2
                                        ;       Child Loop BB8_36 Depth 3
	s_andn2_b32 vcc_lo, exec_lo, s7
	s_cbranch_vccnz .LBB8_33
; %bb.35:                               ;   in Loop: Header=BB8_34 Depth=2
	v_lshlrev_b64 v[4:5], 2, v[1:2]
	v_add_nc_u32_e32 v8, s3, v1
	v_add_nc_u32_e32 v9, s22, v1
	s_mov_b32 s21, 0
	v_add_co_u32 v4, vcc_lo, s79, v4
	v_add_co_ci_u32_e64 v5, null, s80, v5, vcc_lo
	global_load_dword v6, v[4:5], off
	v_ashrrev_i32_e32 v4, 31, v3
	v_lshlrev_b64 v[4:5], 2, v[3:4]
	v_add_co_u32 v4, vcc_lo, s19, v4
	v_add_co_ci_u32_e64 v5, null, s28, v5, vcc_lo
.LBB8_36:                               ;   Parent Loop BB8_4 Depth=1
                                        ;     Parent Loop BB8_34 Depth=2
                                        ; =>    This Inner Loop Header: Depth=3
	v_add_nc_u32_e32 v9, s22, v9
	s_waitcnt vmcnt(0)
	global_store_dword v[4:5], v6, off
	v_add_co_u32 v4, s1, v4, s24
	v_add_co_ci_u32_e64 v5, null, s25, v5, s1
	v_cmp_ge_i32_e32 vcc_lo, v9, v8
	s_or_b32 s21, vcc_lo, s21
	s_andn2_b32 exec_lo, exec_lo, s21
	s_cbranch_execnz .LBB8_36
; %bb.37:                               ;   in Loop: Header=BB8_34 Depth=2
	s_or_b32 exec_lo, exec_lo, s21
	s_branch .LBB8_33
.LBB8_38:                               ;   in Loop: Header=BB8_4 Depth=1
	s_inst_prefetch 0x2
	s_or_b32 exec_lo, exec_lo, s2
	v_cmp_gt_i32_e32 vcc_lo, s77, v0
	s_and_saveexec_b32 s3, vcc_lo
	s_cbranch_execz .LBB8_41
; %bb.39:                               ;   in Loop: Header=BB8_4 Depth=1
	s_lshl_b64 s[30:31], s[4:5], 2
	v_mov_b32_e32 v4, v0
	v_add_co_u32 v1, s1, v27, s30
	v_add_co_ci_u32_e64 v3, null, 0, s31, s1
	s_lshl_b32 s7, s11, 2
	s_mov_b32 s19, 0
	.p2align	6
.LBB8_40:                               ;   Parent Loop BB8_4 Depth=1
                                        ; =>  This Inner Loop Header: Depth=2
	v_add_co_u32 v5, s1, s47, v1
	v_add_co_ci_u32_e64 v6, null, s48, v3, s1
	v_add_nc_u32_e32 v4, s11, v4
	global_load_dword v8, v[5:6], off
	v_add_co_u32 v5, s1, s59, v1
	v_add_co_ci_u32_e64 v6, null, s60, v3, s1
	v_cmp_le_i32_e64 s1, s77, v4
	v_add_co_u32 v1, s2, v1, s7
	v_add_co_ci_u32_e64 v3, null, 0, v3, s2
	s_or_b32 s19, s1, s19
	s_waitcnt vmcnt(0)
	global_store_dword v[5:6], v8, off
	s_andn2_b32 exec_lo, exec_lo, s19
	s_cbranch_execnz .LBB8_40
.LBB8_41:                               ;   in Loop: Header=BB8_4 Depth=1
	s_or_b32 exec_lo, exec_lo, s3
	s_lshl_b64 s[34:35], s[4:5], 2
	s_waitcnt_vscnt null, 0x0
	s_add_u32 s30, s57, s34
	s_addc_u32 s31, s58, s35
	s_barrier
	buffer_gl0_inv
	s_and_saveexec_b32 s81, vcc_lo
	s_cbranch_execz .LBB8_238
; %bb.42:                               ;   in Loop: Header=BB8_4 Depth=1
	v_add_f32_e32 v1, v7, v7
	s_add_u32 s82, s59, s34
	s_addc_u32 s83, s60, s35
	s_add_u32 s84, s53, s34
	s_addc_u32 s85, s54, s35
	v_cmp_gt_f32_e64 s1, 0, v1
	s_cmp_lt_i32 s18, 1
	s_mov_b32 s93, 0
	s_cselect_b32 s86, -1, 0
	s_add_i32 s36, s18, -1
	v_cndmask_b32_e64 v29, v1, -v1, s1
	s_add_i32 s87, s18, -2
	s_cmp_gt_u32 s18, 2
	s_cselect_b32 s88, -1, 0
	v_div_scale_f32 v1, null, v29, v29, 1.0
	v_div_scale_f32 v5, vcc_lo, 1.0, v29, 1.0
	s_ashr_i32 s19, s18, 31
	v_rcp_f32_e32 v4, v1
	s_lshl_b64 s[38:39], s[18:19], 2
	v_mul_f32_e32 v30, 0.5, v29
	s_add_u32 s40, s30, s38
	s_addc_u32 s41, s31, s39
	s_cmp_gt_u32 s18, 1
	s_mul_i32 s19, s22, s11
	s_cselect_b32 s89, -1, 0
	s_add_u32 s90, s75, s8
	s_addc_u32 s91, s76, s9
	v_fma_f32 v3, -v1, v4, 1.0
	s_ashr_i32 s37, s36, 31
	s_lshl_b64 s[2:3], s[36:37], 2
	s_add_u32 s4, s8, s2
	v_fmac_f32_e32 v4, v3, v4
	s_addc_u32 s5, s9, s3
	s_add_u32 s37, s75, s4
	s_addc_u32 s92, s76, s5
	s_add_u32 s2, s34, s2
	v_mul_f32_e32 v6, v5, v4
	s_addc_u32 s3, s35, s3
	s_add_u32 s42, s57, s2
	s_addc_u32 s43, s58, s3
	v_fma_f32 v3, -v1, v6, v5
	v_fmac_f32_e32 v6, v3, v4
	v_mov_b32_e32 v3, v28
	v_fma_f32 v1, -v1, v6, v5
	v_div_fmas_f32 v1, v1, v4, v6
	v_div_fixup_f32 v31, v1, v29, 1.0
	v_mov_b32_e32 v1, v0
	v_add_f32_e32 v32, v31, v31
	s_branch .LBB8_44
.LBB8_43:                               ;   in Loop: Header=BB8_44 Depth=2
	s_or_b32 exec_lo, exec_lo, s94
	v_add_nc_u32_e32 v1, s11, v1
	v_add_nc_u32_e32 v3, s19, v3
	v_cmp_le_i32_e32 vcc_lo, s77, v1
	s_or_b32 s93, vcc_lo, s93
	s_andn2_b32 exec_lo, exec_lo, s93
	s_cbranch_execz .LBB8_238
.LBB8_44:                               ;   Parent Loop BB8_4 Depth=1
                                        ; =>  This Loop Header: Depth=2
                                        ;       Child Loop BB8_49 Depth 3
                                        ;       Child Loop BB8_56 Depth 3
	;; [unrolled: 1-line block ×10, first 2 shown]
                                        ;         Child Loop BB8_162 Depth 4
                                        ;         Child Loop BB8_166 Depth 4
                                        ;       Child Loop BB8_172 Depth 3
                                        ;       Child Loop BB8_188 Depth 3
	;; [unrolled: 1-line block ×5, first 2 shown]
                                        ;         Child Loop BB8_232 Depth 4
	v_lshlrev_b64 v[5:6], 2, v[1:2]
	s_mov_b32 s94, exec_lo
	v_add_co_u32 v7, vcc_lo, s84, v5
	v_add_co_ci_u32_e64 v8, null, s85, v6, vcc_lo
	global_load_dword v4, v[7:8], off offset:8
	s_waitcnt vmcnt(0)
	v_cmpx_eq_u32_e32 1, v4
	s_cbranch_execz .LBB8_43
; %bb.45:                               ;   in Loop: Header=BB8_44 Depth=2
	v_mul_lo_u32 v4, v1, s22
	s_andn2_b32 vcc_lo, exec_lo, s86
	s_mov_b32 s2, -1
                                        ; implicit-def: $vgpr7
	s_cbranch_vccnz .LBB8_47
; %bb.46:                               ;   in Loop: Header=BB8_44 Depth=2
	v_mul_lo_u32 v7, v1, s22
	s_mov_b32 s2, 0
.LBB8_47:                               ;   in Loop: Header=BB8_44 Depth=2
	v_add_co_u32 v5, vcc_lo, s82, v5
	v_add_co_ci_u32_e64 v6, null, s83, v6, vcc_lo
	v_mov_b32_e32 v14, 0
	s_andn2_b32 vcc_lo, exec_lo, s2
	s_cbranch_vccnz .LBB8_51
; %bb.48:                               ;   in Loop: Header=BB8_44 Depth=2
	global_load_dword v7, v[5:6], off
	v_mov_b32_e32 v14, 0
	v_mov_b32_e32 v8, s18
	s_mov_b32 s3, 0
	s_waitcnt vmcnt(0)
	v_cndmask_b32_e64 v7, v7, -v7, s1
	.p2align	6
.LBB8_49:                               ;   Parent Loop BB8_4 Depth=1
                                        ;     Parent Loop BB8_44 Depth=2
                                        ; =>    This Inner Loop Header: Depth=3
	v_lshrrev_b32_e32 v11, 1, v8
	v_add_nc_u32_e32 v12, v14, v11
	v_xad_u32 v8, v11, -1, v8
	v_add_nc_u32_e32 v9, v12, v4
	v_ashrrev_i32_e32 v10, 31, v9
	v_lshlrev_b64 v[9:10], 2, v[9:10]
	v_add_co_u32 v9, vcc_lo, s79, v9
	v_add_co_ci_u32_e64 v10, null, s80, v10, vcc_lo
	global_load_dword v9, v[9:10], off
	s_waitcnt vmcnt(0)
	v_cmp_lt_f32_e32 vcc_lo, v9, v7
	v_add_nc_u32_e32 v9, 1, v12
	v_cndmask_b32_e32 v8, v11, v8, vcc_lo
	v_cndmask_b32_e32 v14, v14, v9, vcc_lo
	v_cmp_gt_i32_e64 s2, 1, v8
	s_or_b32 s3, s2, s3
	s_andn2_b32 exec_lo, exec_lo, s3
	s_cbranch_execnz .LBB8_49
; %bb.50:                               ;   in Loop: Header=BB8_44 Depth=2
	s_or_b32 exec_lo, exec_lo, s3
	v_mov_b32_e32 v7, v4
.LBB8_51:                               ;   in Loop: Header=BB8_44 Depth=2
	v_ashrrev_i32_e32 v4, 31, v3
	v_ashrrev_i32_e32 v8, 31, v7
                                        ; implicit-def: $vgpr34
	v_lshlrev_b64 v[18:19], 2, v[3:4]
	v_lshlrev_b64 v[9:10], 2, v[7:8]
	v_add_co_u32 v7, s2, s90, v18
	v_add_co_ci_u32_e64 v8, null, s91, v19, s2
	v_add_co_u32 v35, s2, s79, v9
	v_add_co_ci_u32_e64 v36, null, s80, v10, s2
	s_mov_b32 s2, exec_lo
	v_cmpx_ne_u32_e64 s36, v14
	s_xor_b32 s95, exec_lo, s2
	s_cbranch_execnz .LBB8_54
; %bb.52:                               ;   in Loop: Header=BB8_44 Depth=2
	s_andn2_saveexec_b32 s5, s95
	s_cbranch_execnz .LBB8_170
.LBB8_53:                               ;   in Loop: Header=BB8_44 Depth=2
	s_or_b32 exec_lo, exec_lo, s5
	global_store_dword v[5:6], v34, off
	s_and_b32 exec_lo, exec_lo, s1
	s_cbranch_execz .LBB8_43
	s_branch .LBB8_237
.LBB8_54:                               ;   in Loop: Header=BB8_44 Depth=2
	v_mov_b32_e32 v15, v2
	v_mov_b32_e32 v17, 0
	s_mov_b32 s3, exec_lo
	v_lshlrev_b64 v[11:12], 2, v[14:15]
	v_add_co_u32 v9, vcc_lo, v35, v11
	v_add_co_ci_u32_e64 v10, null, v36, v12, vcc_lo
	global_load_dwordx2 v[20:21], v[9:10], off
	s_waitcnt vmcnt(0)
	v_add_f32_e32 v13, v20, v21
	v_mov_b32_e32 v4, v21
	v_mul_f32_e32 v22, 0.5, v13
	v_cmpx_ne_u32_e32 0, v14
	s_cbranch_execz .LBB8_58
; %bb.55:                               ;   in Loop: Header=BB8_44 Depth=2
	v_mov_b32_e32 v16, v8
	v_mov_b32_e32 v17, 0
	;; [unrolled: 1-line block ×4, first 2 shown]
	s_mov_b32 s7, 0
	s_mov_b64 s[4:5], s[30:31]
	s_inst_prefetch 0x1
	.p2align	6
.LBB8_56:                               ;   Parent Loop BB8_4 Depth=1
                                        ;     Parent Loop BB8_44 Depth=2
                                        ; =>    This Inner Loop Header: Depth=3
	global_load_dword v23, v[15:16], off
	global_load_dword v33, v2, s[4:5]
	v_add_nc_u32_e32 v13, -1, v13
	s_add_u32 s4, s4, 4
	s_addc_u32 s5, s5, 0
	v_cmp_eq_u32_e64 s2, 0, v13
	s_or_b32 s7, s2, s7
	s_waitcnt vmcnt(1)
	v_sub_f32_e32 v23, v23, v22
	s_waitcnt vmcnt(0)
	v_div_scale_f32 v34, null, v23, v23, v33
	v_div_scale_f32 v39, vcc_lo, v33, v23, v33
	v_rcp_f32_e32 v37, v34
	v_fma_f32 v38, -v34, v37, 1.0
	v_fmac_f32_e32 v37, v38, v37
	v_mul_f32_e32 v38, v39, v37
	v_fma_f32 v40, -v34, v38, v39
	v_fmac_f32_e32 v38, v40, v37
	v_fma_f32 v34, -v34, v38, v39
	v_div_fmas_f32 v34, v34, v37, v38
	v_add_co_u32 v15, vcc_lo, v15, 4
	v_add_co_ci_u32_e64 v16, null, 0, v16, vcc_lo
	v_div_fixup_f32 v23, v34, v23, v33
	v_fmac_f32_e32 v17, v33, v23
	s_andn2_b32 exec_lo, exec_lo, s7
	s_cbranch_execnz .LBB8_56
; %bb.57:                               ;   in Loop: Header=BB8_44 Depth=2
	s_inst_prefetch 0x2
	s_or_b32 exec_lo, exec_lo, s7
.LBB8_58:                               ;   in Loop: Header=BB8_44 Depth=2
	s_or_b32 exec_lo, exec_lo, s3
	v_add_nc_u32_e32 v13, 1, v14
	v_mov_b32_e32 v15, 0
	s_mov_b32 s2, exec_lo
	v_cmpx_gt_i32_e64 s36, v13
	s_cbranch_execz .LBB8_62
; %bb.59:                               ;   in Loop: Header=BB8_44 Depth=2
	v_mov_b32_e32 v15, 0
	s_mov_b32 s3, 0
	s_mov_b32 s28, s36
	s_inst_prefetch 0x1
	.p2align	6
.LBB8_60:                               ;   Parent Loop BB8_4 Depth=1
                                        ;     Parent Loop BB8_44 Depth=2
                                        ; =>    This Inner Loop Header: Depth=3
	s_lshl_b64 s[4:5], s[28:29], 2
	v_add_co_u32 v33, vcc_lo, v35, s4
	v_add_co_ci_u32_e64 v34, null, s5, v36, vcc_lo
	s_add_u32 s4, s30, s4
	s_addc_u32 s5, s31, s5
	s_add_i32 s28, s28, -1
	global_load_dword v16, v[33:34], off
	global_load_dword v23, v2, s[4:5]
	s_waitcnt vmcnt(1)
	v_sub_f32_e32 v16, v16, v22
	s_waitcnt vmcnt(0)
	v_div_scale_f32 v33, null, v16, v16, v23
	v_div_scale_f32 v38, vcc_lo, v23, v16, v23
	v_rcp_f32_e32 v34, v33
	v_fma_f32 v37, -v33, v34, 1.0
	v_fmac_f32_e32 v34, v37, v34
	v_mul_f32_e32 v37, v38, v34
	v_fma_f32 v39, -v33, v37, v38
	v_fmac_f32_e32 v37, v39, v34
	v_fma_f32 v33, -v33, v37, v38
	v_div_fmas_f32 v33, v33, v34, v37
	v_cmp_le_u32_e32 vcc_lo, s28, v13
	v_div_fixup_f32 v16, v33, v16, v23
	s_or_b32 s3, vcc_lo, s3
	v_fmac_f32_e32 v15, v23, v16
	s_andn2_b32 exec_lo, exec_lo, s3
	s_cbranch_execnz .LBB8_60
; %bb.61:                               ;   in Loop: Header=BB8_44 Depth=2
	s_inst_prefetch 0x2
	s_or_b32 exec_lo, exec_lo, s3
.LBB8_62:                               ;   in Loop: Header=BB8_44 Depth=2
	s_or_b32 exec_lo, exec_lo, s2
	v_add_co_u32 v11, vcc_lo, s30, v11
	v_add_co_ci_u32_e64 v12, null, s31, v12, vcc_lo
	v_sub_f32_e32 v33, v21, v20
	v_add_f32_e32 v17, v31, v17
	global_load_dwordx2 v[22:23], v[11:12], off
	v_add_f32_e32 v15, v17, v15
	s_waitcnt vmcnt(0)
	v_mul_f32_e32 v16, v22, v22
	v_fma_f32 v22, v23, v23, -v16
	v_add_f32_e32 v22, v22, v22
	v_div_scale_f32 v34, null, v33, v33, v22
	v_div_scale_f32 v39, vcc_lo, v22, v33, v22
	v_rcp_f32_e32 v37, v34
	v_fma_f32 v38, -v34, v37, 1.0
	v_fmac_f32_e32 v37, v38, v37
	v_mul_f32_e32 v38, v39, v37
	v_fma_f32 v40, -v34, v38, v39
	v_fmac_f32_e32 v38, v40, v37
	v_fma_f32 v34, -v34, v38, v39
	v_div_fmas_f32 v34, v34, v37, v38
                                        ; implicit-def: $vgpr37
                                        ; implicit-def: $vgpr38
	v_div_fixup_f32 v17, v34, v33, v22
                                        ; implicit-def: $vgpr34
	v_add_f32_e32 v22, v15, v17
	v_mul_f32_e32 v17, v23, v23
	v_cmp_lt_f32_e64 s2, 0, v22
	v_cmp_nlt_f32_e64 s3, 0, v22
	v_mul_f32_e32 v22, v33, v15
	s_and_saveexec_b32 s4, s3
	s_xor_b32 s5, exec_lo, s4
	s_cbranch_execz .LBB8_68
; %bb.63:                               ;   in Loop: Header=BB8_44 Depth=2
	v_mul_f32_e32 v14, v33, v17
	v_sub_f32_e32 v16, v22, v16
	v_mul_f32_e32 v22, 4.0, v14
	v_sub_f32_e32 v16, v16, v17
	v_mul_f32_e32 v17, v15, v22
	v_fmac_f32_e32 v17, v16, v16
	v_mul_f32_e64 v22, 0x4f800000, |v17|
	v_cmp_gt_f32_e64 vcc_lo, 0xf800000, |v17|
	v_cndmask_b32_e64 v17, |v17|, v22, vcc_lo
	v_sqrt_f32_e32 v22, v17
	v_add_nc_u32_e32 v23, -1, v22
	v_add_nc_u32_e32 v34, 1, v22
	v_fma_f32 v37, -v23, v22, v17
	v_fma_f32 v38, -v34, v22, v17
	v_cmp_ge_f32_e64 s4, 0, v37
                                        ; implicit-def: $vgpr37
	v_cndmask_b32_e64 v22, v22, v23, s4
	v_cmp_lt_f32_e64 s4, 0, v38
	v_cndmask_b32_e64 v22, v22, v34, s4
	s_mov_b32 s4, exec_lo
	v_mul_f32_e32 v23, 0x37800000, v22
	v_cndmask_b32_e32 v22, v22, v23, vcc_lo
	v_cmp_class_f32_e64 vcc_lo, v17, 0x260
	v_cndmask_b32_e32 v17, v22, v17, vcc_lo
	v_cmpx_ngt_f32_e32 0, v16
	s_xor_b32 s4, exec_lo, s4
	s_cbranch_execz .LBB8_65
; %bb.64:                               ;   in Loop: Header=BB8_44 Depth=2
	v_add_f32_e32 v14, v16, v17
	v_add_f32_e32 v15, v15, v15
	v_div_scale_f32 v16, null, v15, v15, -v14
	v_rcp_f32_e32 v17, v16
	v_fma_f32 v22, -v16, v17, 1.0
	v_fmac_f32_e32 v17, v22, v17
	v_div_scale_f32 v22, vcc_lo, -v14, v15, -v14
	v_mul_f32_e32 v23, v22, v17
	v_fma_f32 v34, -v16, v23, v22
	v_fmac_f32_e32 v23, v34, v17
	v_fma_f32 v16, -v16, v23, v22
	v_div_fmas_f32 v16, v16, v17, v23
                                        ; implicit-def: $vgpr17
	v_div_fixup_f32 v37, v16, v15, -v14
                                        ; implicit-def: $vgpr14
                                        ; implicit-def: $vgpr16
.LBB8_65:                               ;   in Loop: Header=BB8_44 Depth=2
	s_andn2_saveexec_b32 s4, s4
	s_cbranch_execz .LBB8_67
; %bb.66:                               ;   in Loop: Header=BB8_44 Depth=2
	v_add_f32_e32 v14, v14, v14
	v_sub_f32_e32 v15, v16, v17
	v_div_scale_f32 v16, null, v15, v15, v14
	v_rcp_f32_e32 v17, v16
	v_fma_f32 v22, -v16, v17, 1.0
	v_fmac_f32_e32 v17, v22, v17
	v_div_scale_f32 v22, vcc_lo, v14, v15, v14
	v_mul_f32_e32 v23, v22, v17
	v_fma_f32 v34, -v16, v23, v22
	v_fmac_f32_e32 v23, v34, v17
	v_fma_f32 v16, -v16, v23, v22
	v_div_fmas_f32 v16, v16, v17, v23
	v_div_fixup_f32 v37, v16, v15, v14
.LBB8_67:                               ;   in Loop: Header=BB8_44 Depth=2
	s_or_b32 exec_lo, exec_lo, s4
	v_mul_f32_e32 v38, -0.5, v33
	v_add_f32_e32 v34, v21, v37
                                        ; implicit-def: $vgpr22
                                        ; implicit-def: $vgpr16
                                        ; implicit-def: $vgpr17
                                        ; implicit-def: $vgpr15
                                        ; implicit-def: $vgpr14
.LBB8_68:                               ;   in Loop: Header=BB8_44 Depth=2
	s_or_saveexec_b32 s5, s5
	v_mov_b32_e32 v39, 0
	s_xor_b32 exec_lo, exec_lo, s5
	s_cbranch_execz .LBB8_74
; %bb.69:                               ;   in Loop: Header=BB8_44 Depth=2
	v_mul_f32_e32 v4, v33, v16
	v_add_f32_e32 v13, v22, v16
	v_mul_f32_e32 v16, -4.0, v4
	v_add_f32_e32 v13, v13, v17
	v_mul_f32_e32 v16, v15, v16
	v_fmac_f32_e32 v16, v13, v13
	v_mul_f32_e64 v17, 0x4f800000, |v16|
	v_cmp_gt_f32_e64 vcc_lo, 0xf800000, |v16|
	v_cndmask_b32_e64 v16, |v16|, v17, vcc_lo
	v_sqrt_f32_e32 v17, v16
	v_add_nc_u32_e32 v22, -1, v17
	v_add_nc_u32_e32 v23, 1, v17
	v_fma_f32 v34, -v22, v17, v16
	v_fma_f32 v37, -v23, v17, v16
	v_cmp_ge_f32_e64 s4, 0, v34
	v_cndmask_b32_e64 v17, v17, v22, s4
	v_cmp_lt_f32_e64 s4, 0, v37
                                        ; implicit-def: $vgpr37
	v_cndmask_b32_e64 v17, v17, v23, s4
	s_mov_b32 s4, exec_lo
	v_mul_f32_e32 v22, 0x37800000, v17
	v_cndmask_b32_e32 v17, v17, v22, vcc_lo
	v_cmp_class_f32_e64 vcc_lo, v16, 0x260
	v_cndmask_b32_e32 v16, v17, v16, vcc_lo
	v_cmpx_nlt_f32_e32 0, v13
	s_xor_b32 s4, exec_lo, s4
	s_cbranch_execz .LBB8_71
; %bb.70:                               ;   in Loop: Header=BB8_44 Depth=2
	v_sub_f32_e32 v4, v13, v16
	v_add_f32_e32 v13, v15, v15
	v_div_scale_f32 v15, null, v13, v13, v4
	v_rcp_f32_e32 v16, v15
	v_fma_f32 v17, -v15, v16, 1.0
	v_fmac_f32_e32 v16, v17, v16
	v_div_scale_f32 v17, vcc_lo, v4, v13, v4
	v_mul_f32_e32 v22, v17, v16
	v_fma_f32 v23, -v15, v22, v17
	v_fmac_f32_e32 v22, v23, v16
	v_fma_f32 v15, -v15, v22, v17
	v_div_fmas_f32 v15, v15, v16, v22
                                        ; implicit-def: $vgpr16
	v_div_fixup_f32 v37, v15, v13, v4
                                        ; implicit-def: $vgpr4
                                        ; implicit-def: $vgpr13
.LBB8_71:                               ;   in Loop: Header=BB8_44 Depth=2
	s_andn2_saveexec_b32 s4, s4
	s_cbranch_execz .LBB8_73
; %bb.72:                               ;   in Loop: Header=BB8_44 Depth=2
	v_add_f32_e32 v4, v4, v4
	v_add_f32_e32 v13, v13, v16
	v_div_scale_f32 v15, null, v13, v13, v4
	v_rcp_f32_e32 v16, v15
	v_fma_f32 v17, -v15, v16, 1.0
	v_fmac_f32_e32 v16, v17, v16
	v_div_scale_f32 v17, vcc_lo, v4, v13, v4
	v_mul_f32_e32 v22, v17, v16
	v_fma_f32 v23, -v15, v22, v17
	v_fmac_f32_e32 v22, v23, v16
	v_fma_f32 v15, -v15, v22, v17
	v_div_fmas_f32 v15, v15, v16, v22
	v_div_fixup_f32 v37, v15, v13, v4
.LBB8_73:                               ;   in Loop: Header=BB8_44 Depth=2
	s_or_b32 exec_lo, exec_lo, s4
	v_mul_f32_e32 v39, 0.5, v33
	v_add_f32_e32 v34, v20, v37
	v_mov_b32_e32 v38, 0
	v_mov_b32_e32 v13, v14
	;; [unrolled: 1-line block ×3, first 2 shown]
.LBB8_74:                               ;   in Loop: Header=BB8_44 Depth=2
	s_or_b32 exec_lo, exec_lo, s5
	v_mov_b32_e32 v15, v8
	v_mov_b32_e32 v14, v7
	s_mov_b32 s7, -1
	s_mov_b32 s5, 0
.LBB8_75:                               ;   Parent Loop BB8_4 Depth=1
                                        ;     Parent Loop BB8_44 Depth=2
                                        ; =>    This Inner Loop Header: Depth=3
	global_load_dword v16, v[14:15], off
	s_add_i32 s7, s7, 1
	v_cmp_eq_u32_e32 vcc_lo, s7, v13
	s_or_b32 s5, vcc_lo, s5
	s_waitcnt vmcnt(0)
	v_sub_f32_e32 v16, v16, v4
	global_store_dword v[14:15], v16, off
	v_add_co_u32 v14, s4, v14, 4
	v_add_co_ci_u32_e64 v15, null, 0, v15, s4
	s_andn2_b32 exec_lo, exec_lo, s5
	s_cbranch_execnz .LBB8_75
; %bb.76:                               ;   in Loop: Header=BB8_44 Depth=2
	s_or_b32 exec_lo, exec_lo, s5
	v_cmp_gt_i32_e64 s4, s36, v13
	s_and_saveexec_b32 s5, s4
	s_cbranch_execz .LBB8_79
; %bb.77:                               ;   in Loop: Header=BB8_44 Depth=2
	s_mov_b32 s7, 0
	s_mov_b32 s28, s36
.LBB8_78:                               ;   Parent Loop BB8_4 Depth=1
                                        ;     Parent Loop BB8_44 Depth=2
                                        ; =>    This Inner Loop Header: Depth=3
	s_lshl_b64 s[8:9], s[28:29], 2
	s_add_i32 s28, s28, -1
	v_add_co_u32 v14, vcc_lo, v35, s8
	v_add_co_ci_u32_e64 v15, null, s9, v36, vcc_lo
	v_cmp_le_u32_e32 vcc_lo, s28, v13
	global_load_dword v16, v[14:15], off
	s_or_b32 s7, vcc_lo, s7
	s_waitcnt vmcnt(0)
	v_sub_f32_e32 v16, v16, v4
	global_store_dword v[14:15], v16, off
	s_andn2_b32 exec_lo, exec_lo, s7
	s_cbranch_execnz .LBB8_78
.LBB8_79:                               ;   in Loop: Header=BB8_44 Depth=2
	s_or_b32 exec_lo, exec_lo, s5
	v_mov_b32_e32 v14, v2
	v_cmp_ne_u32_e64 s5, 0, v13
	v_mov_b32_e32 v41, 0
	v_mov_b32_e32 v42, 0
	v_lshlrev_b64 v[16:17], 2, v[13:14]
	v_add_co_u32 v14, vcc_lo, v35, v16
	v_add_co_ci_u32_e64 v15, null, v36, v17, vcc_lo
	global_load_dword v22, v[14:15], off
	s_waitcnt vmcnt(0)
	v_sub_f32_e32 v23, v22, v37
	v_mov_b32_e32 v22, 0
	global_store_dword v[14:15], v23, off
	s_and_saveexec_b32 s28, s5
	s_cbranch_execz .LBB8_83
; %bb.80:                               ;   in Loop: Header=BB8_44 Depth=2
	v_mov_b32_e32 v23, v8
	v_mov_b32_e32 v41, 0
	;; [unrolled: 1-line block ×6, first 2 shown]
	s_mov_b32 s96, 0
	s_mov_b64 s[8:9], s[30:31]
	s_inst_prefetch 0x1
	.p2align	6
.LBB8_81:                               ;   Parent Loop BB8_4 Depth=1
                                        ;     Parent Loop BB8_44 Depth=2
                                        ; =>    This Inner Loop Header: Depth=3
	global_load_dword v44, v[22:23], off
	v_add_nc_u32_e32 v43, -1, v43
	s_waitcnt vmcnt(0)
	v_sub_f32_e32 v44, v44, v37
	global_store_dword v[22:23], v44, off
	global_load_dword v45, v2, s[8:9]
	v_add_co_u32 v22, s7, v22, 4
	v_add_co_ci_u32_e64 v23, null, 0, v23, s7
	s_add_u32 s8, s8, 4
	s_addc_u32 s9, s9, 0
	s_waitcnt vmcnt(0)
	v_div_scale_f32 v46, null, v44, v44, v45
	v_div_scale_f32 v48, vcc_lo, v45, v44, v45
	v_rcp_f32_e32 v47, v46
	v_fma_f32 v49, -v46, v47, 1.0
	v_fmac_f32_e32 v47, v49, v47
	v_mul_f32_e32 v49, v48, v47
	v_fma_f32 v50, -v46, v49, v48
	v_fmac_f32_e32 v49, v50, v47
	v_fma_f32 v46, -v46, v49, v48
	v_div_fmas_f32 v46, v46, v47, v49
	v_cmp_eq_u32_e32 vcc_lo, 0, v43
	v_div_fixup_f32 v44, v46, v44, v45
	s_or_b32 s96, vcc_lo, s96
	v_fmac_f32_e32 v42, v45, v44
	v_fmac_f32_e32 v41, v44, v44
	v_add_f32_e32 v40, v40, v42
	s_andn2_b32 exec_lo, exec_lo, s96
	s_cbranch_execnz .LBB8_81
; %bb.82:                               ;   in Loop: Header=BB8_44 Depth=2
	s_inst_prefetch 0x2
	s_or_b32 exec_lo, exec_lo, s96
	v_and_b32_e32 v22, 0x7fffffff, v40
.LBB8_83:                               ;   in Loop: Header=BB8_44 Depth=2
	s_or_b32 exec_lo, exec_lo, s28
	v_mov_b32_e32 v23, 0
	v_mov_b32_e32 v45, 0
	s_and_saveexec_b32 s7, s4
	s_cbranch_execz .LBB8_87
; %bb.84:                               ;   in Loop: Header=BB8_44 Depth=2
	v_mov_b32_e32 v23, 0
	v_mov_b32_e32 v45, 0
	s_mov_b32 s8, 0
	s_mov_b32 s28, s36
	s_inst_prefetch 0x1
	.p2align	6
.LBB8_85:                               ;   Parent Loop BB8_4 Depth=1
                                        ;     Parent Loop BB8_44 Depth=2
                                        ; =>    This Inner Loop Header: Depth=3
	s_lshl_b64 s[96:97], s[28:29], 2
	v_add_co_u32 v43, vcc_lo, v35, s96
	v_add_co_ci_u32_e64 v44, null, s97, v36, vcc_lo
	s_add_u32 s96, s30, s96
	s_addc_u32 s97, s31, s97
	s_add_i32 s28, s28, -1
	global_load_dword v40, v[43:44], off
	s_waitcnt vmcnt(0)
	v_sub_f32_e32 v40, v40, v37
	global_store_dword v[43:44], v40, off
	global_load_dword v43, v2, s[96:97]
	s_waitcnt vmcnt(0)
	v_div_scale_f32 v44, null, v40, v40, v43
	v_div_scale_f32 v48, vcc_lo, v43, v40, v43
	v_rcp_f32_e32 v46, v44
	v_fma_f32 v47, -v44, v46, 1.0
	v_fmac_f32_e32 v46, v47, v46
	v_mul_f32_e32 v47, v48, v46
	v_fma_f32 v49, -v44, v47, v48
	v_fmac_f32_e32 v47, v49, v46
	v_fma_f32 v44, -v44, v47, v48
	v_div_fmas_f32 v44, v44, v46, v47
	v_cmp_le_u32_e32 vcc_lo, s28, v13
	v_div_fixup_f32 v40, v44, v40, v43
	s_or_b32 s8, vcc_lo, s8
	v_fmac_f32_e32 v45, v43, v40
	v_fmac_f32_e32 v23, v40, v40
	v_add_f32_e32 v22, v22, v45
	s_andn2_b32 exec_lo, exec_lo, s8
	s_cbranch_execnz .LBB8_85
; %bb.86:                               ;   in Loop: Header=BB8_44 Depth=2
	s_inst_prefetch 0x2
	s_or_b32 exec_lo, exec_lo, s8
.LBB8_87:                               ;   in Loop: Header=BB8_44 Depth=2
	s_or_b32 exec_lo, exec_lo, s7
	v_add_co_u32 v16, vcc_lo, s30, v16
	v_add_co_ci_u32_e64 v17, null, s31, v17, vcc_lo
	s_mov_b32 s96, exec_lo
	global_load_dword v40, v[14:15], off
	global_load_dword v46, v[16:17], off
	s_waitcnt vmcnt(0)
	v_div_scale_f32 v43, null, v40, v40, v46
	v_div_scale_f32 v48, vcc_lo, v46, v40, v46
	v_rcp_f32_e32 v44, v43
	v_fma_f32 v47, -v43, v44, 1.0
	v_fmac_f32_e32 v44, v47, v44
	v_mul_f32_e32 v47, v48, v44
	v_fma_f32 v49, -v43, v47, v48
	v_fmac_f32_e32 v47, v49, v44
	v_fma_f32 v43, -v43, v47, v48
	v_div_fmas_f32 v43, v43, v44, v47
	v_add_f32_e32 v44, v41, v23
	v_div_fixup_f32 v47, v43, v40, v46
	v_sub_f32_e32 v43, v45, v42
	v_mul_f32_e32 v23, v46, v47
	v_fmamk_f32 v41, v43, 0x41000000, v32
	v_fma_f32 v43, v47, v47, v44
	v_fma_f32 v23, 0x40400000, |v23|, v41
	v_add_f32_e32 v41, v31, v42
	v_fma_f32 v23, |v37|, v43, v23
	v_add_f32_e32 v41, v41, v45
	v_add_f32_e32 v22, v22, v23
	v_fmac_f32_e32 v41, v46, v47
	v_mul_f32_e32 v22, s46, v22
	v_cmpx_nle_f32_e64 |v41|, v22
	s_cbranch_execz .LBB8_169
; %bb.88:                               ;   in Loop: Header=BB8_44 Depth=2
	global_load_dwordx2 v[22:23], v[9:10], off
                                        ; implicit-def: $vgpr45
	s_and_saveexec_b32 s7, s3
	s_xor_b32 s7, exec_lo, s7
	s_cbranch_execz .LBB8_90
; %bb.89:                               ;   in Loop: Header=BB8_44 Depth=2
	global_load_dword v34, v[11:12], off offset:4
	s_waitcnt vmcnt(0)
	v_mul_f32_e32 v42, v33, v34
	v_mul_f32_e32 v34, v34, v42
	v_div_scale_f32 v42, null, v23, v23, v34
	v_div_scale_f32 v47, vcc_lo, v34, v23, v34
	v_rcp_f32_e32 v45, v42
	v_fma_f32 v46, -v42, v45, 1.0
	v_fmac_f32_e32 v45, v46, v45
	v_mul_f32_e32 v46, v47, v45
	v_fma_f32 v48, -v42, v46, v47
	v_fmac_f32_e32 v46, v48, v45
	v_fma_f32 v42, -v42, v46, v47
	v_div_fmas_f32 v42, v42, v45, v46
	v_div_fixup_f32 v34, v42, v23, v34
	v_div_scale_f32 v42, null, v23, v23, v34
	v_rcp_f32_e32 v45, v42
	v_fma_f32 v46, -v42, v45, 1.0
	v_fmac_f32_e32 v45, v46, v45
	v_div_scale_f32 v46, vcc_lo, v34, v23, v34
	v_mul_f32_e32 v47, v46, v45
	v_fma_f32 v48, -v42, v47, v46
	v_fmac_f32_e32 v47, v48, v45
	v_fma_f32 v42, -v42, v47, v46
	v_div_fmas_f32 v42, v42, v45, v47
	v_fma_f32 v45, -v43, v22, v41
	v_div_fixup_f32 v34, v42, v23, v34
	v_sub_f32_e32 v45, v45, v34
.LBB8_90:                               ;   in Loop: Header=BB8_44 Depth=2
	s_or_saveexec_b32 s7, s7
	v_sub_f32_e32 v34, v20, v21
	s_xor_b32 exec_lo, exec_lo, s7
	s_cbranch_execz .LBB8_92
; %bb.91:                               ;   in Loop: Header=BB8_44 Depth=2
	global_load_dword v20, v[11:12], off
	s_waitcnt vmcnt(0)
	v_mul_f32_e32 v21, v34, v20
	v_mul_f32_e32 v20, v20, v21
	v_div_scale_f32 v21, null, v22, v22, v20
	v_div_scale_f32 v46, vcc_lo, v20, v22, v20
	v_rcp_f32_e32 v42, v21
	v_fma_f32 v45, -v21, v42, 1.0
	v_fmac_f32_e32 v42, v45, v42
	v_mul_f32_e32 v45, v46, v42
	v_fma_f32 v47, -v21, v45, v46
	v_fmac_f32_e32 v45, v47, v42
	v_fma_f32 v21, -v21, v45, v46
	v_div_fmas_f32 v21, v21, v42, v45
	v_div_fixup_f32 v20, v21, v22, v20
	v_div_scale_f32 v21, null, v22, v22, v20
	v_rcp_f32_e32 v42, v21
	v_fma_f32 v45, -v21, v42, 1.0
	v_fmac_f32_e32 v42, v45, v42
	v_div_scale_f32 v45, vcc_lo, v20, v22, v20
	v_mul_f32_e32 v46, v45, v42
	v_fma_f32 v47, -v21, v46, v45
	v_fmac_f32_e32 v46, v47, v42
	v_fma_f32 v21, -v21, v46, v45
	v_div_fmas_f32 v21, v21, v42, v46
	v_fma_f32 v42, -v43, v23, v41
	v_div_fixup_f32 v20, v21, v22, v20
	v_sub_f32_e32 v45, v42, v20
.LBB8_92:                               ;   in Loop: Header=BB8_44 Depth=2
	s_or_b32 exec_lo, exec_lo, s7
	s_waitcnt vmcnt(0)
	v_mul_f32_e32 v20, v22, v23
	v_add_f32_e32 v21, v22, v23
	s_mov_b32 s7, exec_lo
	v_mul_f32_e32 v42, v43, v20
	v_mul_f32_e32 v20, v41, v20
	v_fma_f32 v21, v41, v21, -v42
                                        ; implicit-def: $vgpr42
	v_cmpx_neq_f32_e32 0, v45
	s_xor_b32 s8, exec_lo, s7
	s_cbranch_execz .LBB8_98
; %bb.93:                               ;   in Loop: Header=BB8_44 Depth=2
	v_mul_f32_e32 v22, -4.0, v20
	v_mul_f32_e32 v22, v22, v45
	v_fmac_f32_e32 v22, v21, v21
	v_mul_f32_e64 v23, 0x4f800000, |v22|
	v_cmp_gt_f32_e64 vcc_lo, 0xf800000, |v22|
	v_cndmask_b32_e64 v22, |v22|, v23, vcc_lo
	v_sqrt_f32_e32 v23, v22
	v_add_nc_u32_e32 v42, -1, v23
	v_add_nc_u32_e32 v44, 1, v23
	v_fma_f32 v46, -v42, v23, v22
	v_fma_f32 v47, -v44, v23, v22
	v_cmp_ge_f32_e64 s7, 0, v46
	v_cndmask_b32_e64 v23, v23, v42, s7
	v_cmp_lt_f32_e64 s7, 0, v47
	v_cndmask_b32_e64 v23, v23, v44, s7
	s_mov_b32 s7, exec_lo
	v_mul_f32_e32 v42, 0x37800000, v23
	v_cndmask_b32_e32 v23, v23, v42, vcc_lo
	v_cmp_class_f32_e64 vcc_lo, v22, 0x260
                                        ; implicit-def: $vgpr42
	v_cndmask_b32_e32 v22, v23, v22, vcc_lo
	v_cmpx_ge_f32_e32 0, v21
	s_xor_b32 s7, exec_lo, s7
	s_cbranch_execz .LBB8_95
; %bb.94:                               ;   in Loop: Header=BB8_44 Depth=2
	v_sub_f32_e32 v20, v21, v22
	v_add_f32_e32 v21, v45, v45
	v_div_scale_f32 v22, null, v21, v21, v20
	v_rcp_f32_e32 v23, v22
	v_fma_f32 v42, -v22, v23, 1.0
	v_fmac_f32_e32 v23, v42, v23
	v_div_scale_f32 v42, vcc_lo, v20, v21, v20
	v_mul_f32_e32 v44, v42, v23
	v_fma_f32 v45, -v22, v44, v42
	v_fmac_f32_e32 v44, v45, v23
	v_fma_f32 v22, -v22, v44, v42
	v_div_fmas_f32 v22, v22, v23, v44
	v_div_fixup_f32 v42, v22, v21, v20
                                        ; implicit-def: $vgpr20
                                        ; implicit-def: $vgpr21
                                        ; implicit-def: $vgpr22
.LBB8_95:                               ;   in Loop: Header=BB8_44 Depth=2
	s_andn2_saveexec_b32 s7, s7
	s_cbranch_execz .LBB8_97
; %bb.96:                               ;   in Loop: Header=BB8_44 Depth=2
	v_add_f32_e32 v20, v20, v20
	v_add_f32_e32 v21, v21, v22
	v_div_scale_f32 v22, null, v21, v21, v20
	v_rcp_f32_e32 v23, v22
	v_fma_f32 v42, -v22, v23, 1.0
	v_fmac_f32_e32 v23, v42, v23
	v_div_scale_f32 v42, vcc_lo, v20, v21, v20
	v_mul_f32_e32 v44, v42, v23
	v_fma_f32 v45, -v22, v44, v42
	v_fmac_f32_e32 v44, v45, v23
	v_fma_f32 v22, -v22, v44, v42
	v_div_fmas_f32 v22, v22, v23, v44
	v_div_fixup_f32 v42, v22, v21, v20
.LBB8_97:                               ;   in Loop: Header=BB8_44 Depth=2
	s_or_b32 exec_lo, exec_lo, s7
                                        ; implicit-def: $vgpr21
                                        ; implicit-def: $vgpr20
                                        ; implicit-def: $vgpr22_vgpr23
                                        ; implicit-def: $vgpr44
.LBB8_98:                               ;   in Loop: Header=BB8_44 Depth=2
	s_andn2_saveexec_b32 s7, s8
	s_cbranch_execz .LBB8_106
; %bb.99:                               ;   in Loop: Header=BB8_44 Depth=2
	s_mov_b32 s8, exec_lo
	v_cmpx_eq_f32_e32 0, v21
	s_cbranch_execz .LBB8_105
; %bb.100:                              ;   in Loop: Header=BB8_44 Depth=2
                                        ; implicit-def: $vgpr21
	s_and_saveexec_b32 s9, s3
	s_xor_b32 s9, exec_lo, s9
	s_cbranch_execz .LBB8_102
; %bb.101:                              ;   in Loop: Header=BB8_44 Depth=2
	global_load_dword v21, v[11:12], off offset:4
	v_mul_f32_e32 v22, v22, v22
	s_waitcnt vmcnt(0)
	v_mul_f32_e32 v21, v21, v21
	v_fmac_f32_e32 v21, v44, v22
                                        ; implicit-def: $vgpr22_vgpr23
                                        ; implicit-def: $vgpr44
.LBB8_102:                              ;   in Loop: Header=BB8_44 Depth=2
	s_andn2_saveexec_b32 s9, s9
	s_cbranch_execz .LBB8_104
; %bb.103:                              ;   in Loop: Header=BB8_44 Depth=2
	global_load_dword v21, v[11:12], off
	v_mul_f32_e32 v22, v23, v23
	s_waitcnt vmcnt(0)
	v_mul_f32_e32 v21, v21, v21
	v_fmac_f32_e32 v21, v44, v22
.LBB8_104:                              ;   in Loop: Header=BB8_44 Depth=2
	s_or_b32 exec_lo, exec_lo, s9
.LBB8_105:                              ;   in Loop: Header=BB8_44 Depth=2
	s_or_b32 exec_lo, exec_lo, s8
	v_div_scale_f32 v22, null, v21, v21, v20
	v_rcp_f32_e32 v23, v22
	v_fma_f32 v42, -v22, v23, 1.0
	v_fmac_f32_e32 v23, v42, v23
	v_div_scale_f32 v42, vcc_lo, v20, v21, v20
	v_mul_f32_e32 v44, v42, v23
	v_fma_f32 v45, -v22, v44, v42
	v_fmac_f32_e32 v44, v45, v23
	v_fma_f32 v22, -v22, v44, v42
	v_div_fmas_f32 v22, v22, v23, v44
	v_div_fixup_f32 v42, v22, v21, v20
.LBB8_106:                              ;   in Loop: Header=BB8_44 Depth=2
	s_or_b32 exec_lo, exec_lo, s7
	v_mul_f32_e32 v20, v41, v42
	s_mov_b32 s7, exec_lo
	v_cmpx_le_f32_e32 0, v20
	s_cbranch_execz .LBB8_108
; %bb.107:                              ;   in Loop: Header=BB8_44 Depth=2
	v_div_scale_f32 v20, null, v43, v43, -v41
	v_rcp_f32_e32 v21, v20
	v_fma_f32 v22, -v20, v21, 1.0
	v_fmac_f32_e32 v21, v22, v21
	v_div_scale_f32 v22, vcc_lo, -v41, v43, -v41
	v_mul_f32_e32 v23, v22, v21
	v_fma_f32 v42, -v20, v23, v22
	v_fmac_f32_e32 v23, v42, v21
	v_fma_f32 v20, -v20, v23, v22
	v_div_fmas_f32 v20, v20, v21, v23
	v_div_fixup_f32 v42, v20, v43, -v41
.LBB8_108:                              ;   in Loop: Header=BB8_44 Depth=2
	s_or_b32 exec_lo, exec_lo, s7
	v_cmp_lt_f32_e32 vcc_lo, 0, v41
	v_cmp_lt_f32_e64 s7, v37, v39
	v_cmp_lt_f32_e64 s8, v38, v37
	v_add_f32_e32 v21, v37, v42
	s_and_b32 vcc_lo, vcc_lo, s7
	v_cndmask_b32_e64 v20, v38, v37, s8
	v_cndmask_b32_e32 v22, v39, v37, vcc_lo
	v_cmp_nge_f32_e32 vcc_lo, 0, v41
	v_cndmask_b32_e32 v23, v20, v38, vcc_lo
	v_cmp_gt_f32_e32 vcc_lo, v21, v22
	v_cmp_lt_f32_e64 s7, v21, v23
	s_or_b32 s8, vcc_lo, s7
	s_and_saveexec_b32 s7, s8
	s_cbranch_execz .LBB8_114
; %bb.109:                              ;   in Loop: Header=BB8_44 Depth=2
	s_mov_b32 s8, exec_lo
                                        ; implicit-def: $vgpr42
	v_cmpx_ngt_f32_e32 0, v41
	s_xor_b32 s8, exec_lo, s8
; %bb.110:                              ;   in Loop: Header=BB8_44 Depth=2
	v_sub_f32_e32 v20, v23, v37
	v_mul_f32_e32 v42, 0.5, v20
; %bb.111:                              ;   in Loop: Header=BB8_44 Depth=2
	s_andn2_saveexec_b32 s8, s8
; %bb.112:                              ;   in Loop: Header=BB8_44 Depth=2
	v_sub_f32_e32 v20, v22, v37
	v_mul_f32_e32 v42, 0.5, v20
; %bb.113:                              ;   in Loop: Header=BB8_44 Depth=2
	s_or_b32 exec_lo, exec_lo, s8
.LBB8_114:                              ;   in Loop: Header=BB8_44 Depth=2
	s_or_b32 exec_lo, exec_lo, s7
	v_sub_f32_e32 v21, v40, v42
	v_mov_b32_e32 v38, 0
	v_mov_b32_e32 v20, 0
	;; [unrolled: 1-line block ×3, first 2 shown]
	global_store_dword v[14:15], v21, off
	s_and_saveexec_b32 s28, s5
	s_cbranch_execz .LBB8_118
; %bb.115:                              ;   in Loop: Header=BB8_44 Depth=2
	v_mov_b32_e32 v21, v8
	v_mov_b32_e32 v38, 0
	;; [unrolled: 1-line block ×6, first 2 shown]
	s_mov_b32 s97, 0
	s_mov_b64 s[8:9], s[30:31]
	s_inst_prefetch 0x1
	.p2align	6
.LBB8_116:                              ;   Parent Loop BB8_4 Depth=1
                                        ;     Parent Loop BB8_44 Depth=2
                                        ; =>    This Inner Loop Header: Depth=3
	global_load_dword v44, v[20:21], off
	v_add_nc_u32_e32 v40, -1, v40
	s_waitcnt vmcnt(0)
	v_sub_f32_e32 v44, v44, v42
	global_store_dword v[20:21], v44, off
	global_load_dword v45, v2, s[8:9]
	v_add_co_u32 v20, s7, v20, 4
	v_add_co_ci_u32_e64 v21, null, 0, v21, s7
	s_add_u32 s8, s8, 4
	s_addc_u32 s9, s9, 0
	s_waitcnt vmcnt(0)
	v_div_scale_f32 v46, null, v44, v44, v45
	v_div_scale_f32 v48, vcc_lo, v45, v44, v45
	v_rcp_f32_e32 v47, v46
	v_fma_f32 v49, -v46, v47, 1.0
	v_fmac_f32_e32 v47, v49, v47
	v_mul_f32_e32 v49, v48, v47
	v_fma_f32 v50, -v46, v49, v48
	v_fmac_f32_e32 v49, v50, v47
	v_fma_f32 v46, -v46, v49, v48
	v_div_fmas_f32 v46, v46, v47, v49
	v_cmp_eq_u32_e32 vcc_lo, 0, v40
	v_div_fixup_f32 v44, v46, v44, v45
	s_or_b32 s97, vcc_lo, s97
	v_fmac_f32_e32 v43, v45, v44
	v_fmac_f32_e32 v38, v44, v44
	v_add_f32_e32 v39, v39, v43
	s_andn2_b32 exec_lo, exec_lo, s97
	s_cbranch_execnz .LBB8_116
; %bb.117:                              ;   in Loop: Header=BB8_44 Depth=2
	s_inst_prefetch 0x2
	s_or_b32 exec_lo, exec_lo, s97
	v_and_b32_e32 v20, 0x7fffffff, v39
.LBB8_118:                              ;   in Loop: Header=BB8_44 Depth=2
	s_or_b32 exec_lo, exec_lo, s28
	v_mov_b32_e32 v40, 0
	v_mov_b32_e32 v21, 0
	s_and_saveexec_b32 s7, s4
	s_cbranch_execz .LBB8_122
; %bb.119:                              ;   in Loop: Header=BB8_44 Depth=2
	v_mov_b32_e32 v40, 0
	v_mov_b32_e32 v21, 0
	s_mov_b32 s8, 0
	s_mov_b32 s28, s36
	s_inst_prefetch 0x1
	.p2align	6
.LBB8_120:                              ;   Parent Loop BB8_4 Depth=1
                                        ;     Parent Loop BB8_44 Depth=2
                                        ; =>    This Inner Loop Header: Depth=3
	s_lshl_b64 s[98:99], s[28:29], 2
	v_add_co_u32 v44, vcc_lo, v35, s98
	v_add_co_ci_u32_e64 v45, null, s99, v36, vcc_lo
	s_add_u32 s98, s30, s98
	s_addc_u32 s99, s31, s99
	s_add_i32 s28, s28, -1
	global_load_dword v39, v[44:45], off
	s_waitcnt vmcnt(0)
	v_sub_f32_e32 v39, v39, v42
	global_store_dword v[44:45], v39, off
	global_load_dword v44, v2, s[98:99]
	s_waitcnt vmcnt(0)
	v_div_scale_f32 v45, null, v39, v39, v44
	v_div_scale_f32 v48, vcc_lo, v44, v39, v44
	v_rcp_f32_e32 v46, v45
	v_fma_f32 v47, -v45, v46, 1.0
	v_fmac_f32_e32 v46, v47, v46
	v_mul_f32_e32 v47, v48, v46
	v_fma_f32 v49, -v45, v47, v48
	v_fmac_f32_e32 v47, v49, v46
	v_fma_f32 v45, -v45, v47, v48
	v_div_fmas_f32 v45, v45, v46, v47
	v_cmp_le_u32_e32 vcc_lo, s28, v13
	v_div_fixup_f32 v39, v45, v39, v44
	s_or_b32 s8, vcc_lo, s8
	v_fmac_f32_e32 v21, v44, v39
	v_fmac_f32_e32 v40, v39, v39
	v_add_f32_e32 v20, v20, v21
	s_andn2_b32 exec_lo, exec_lo, s8
	s_cbranch_execnz .LBB8_120
; %bb.121:                              ;   in Loop: Header=BB8_44 Depth=2
	s_inst_prefetch 0x2
	s_or_b32 exec_lo, exec_lo, s8
.LBB8_122:                              ;   in Loop: Header=BB8_44 Depth=2
	s_or_b32 exec_lo, exec_lo, s7
	global_load_dword v44, v[16:17], off
	global_load_dword v39, v[14:15], off
	v_and_b32_e32 v45, 0x7fffffff, v41
	s_mov_b32 s97, 1
	s_mov_b32 s28, 0
                                        ; implicit-def: $sgpr98
	v_div_scale_f32 v46, null, 0x41200000, 0x41200000, v45
	v_div_scale_f32 v45, s7, v45, 0x41200000, v45
	v_rcp_f32_e32 v48, v46
	v_fma_f32 v50, -v46, v48, 1.0
	v_fmac_f32_e32 v48, v50, v48
	v_mul_f32_e32 v50, v45, v48
	s_waitcnt vmcnt(0)
	v_div_scale_f32 v35, null, v39, v39, v44
	v_div_scale_f32 v49, vcc_lo, v44, v39, v44
	v_rcp_f32_e32 v36, v35
	v_fma_f32 v47, -v35, v36, 1.0
	v_fmac_f32_e32 v36, v47, v36
	v_mul_f32_e32 v47, v49, v36
	v_fma_f32 v51, -v35, v47, v49
	v_fmac_f32_e32 v47, v51, v36
	v_fma_f32 v35, -v35, v47, v49
	v_fma_f32 v49, -v46, v50, v45
	v_div_fmas_f32 v36, v35, v36, v47
	v_add_f32_e32 v35, v37, v42
	v_add_f32_e32 v42, v31, v43
	v_fmac_f32_e32 v50, v49, v48
	v_sub_f32_e32 v47, v21, v43
	v_div_fixup_f32 v43, v36, v39, v44
	v_add_f32_e32 v37, v38, v40
	v_add_f32_e32 v36, v42, v21
	v_fma_f32 v21, -v46, v50, v45
	v_fmamk_f32 v42, v47, 0x41000000, v32
	v_mul_f32_e32 v45, v44, v43
	s_mov_b32 vcc_lo, s7
	v_fmac_f32_e32 v37, v43, v43
	v_div_fmas_f32 v21, v21, v48, v50
	v_fmac_f32_e32 v36, v44, v43
	v_fma_f32 v42, 0x40400000, |v45|, v42
	v_add_co_u32 v18, vcc_lo, s37, v18
	v_div_fixup_f32 v21, v21, 0x41200000, |v41|
	v_cndmask_b32_e64 v41, v36, -v36, s2
	v_fma_f32 v42, |v35|, v37, v42
	v_add_co_ci_u32_e64 v19, null, s92, v19, vcc_lo
	v_cmp_gt_f32_e64 s99, v41, v21
	v_add_f32_e32 v20, v20, v42
	s_branch .LBB8_125
.LBB8_123:                              ;   in Loop: Header=BB8_125 Depth=3
	s_or_b32 exec_lo, exec_lo, vcc_hi
	global_load_dword v20, v[16:17], off
	global_load_dword v39, v[14:15], off
	v_and_b32_e32 v43, 0x7fffffff, v36
	v_add_f32_e32 v35, v35, v41
	s_add_i32 s97, s97, 1
	v_div_scale_f32 v46, null, 0x41200000, 0x41200000, v43
	v_div_scale_f32 v43, s7, v43, 0x41200000, v43
	v_rcp_f32_e32 v47, v46
	s_waitcnt vmcnt(0)
	v_div_scale_f32 v21, null, v39, v39, v20
	v_div_scale_f32 v49, vcc_lo, v20, v39, v20
	v_rcp_f32_e32 v45, v21
	v_fma_f32 v48, -v21, v45, 1.0
	v_fmac_f32_e32 v45, v48, v45
	v_fma_f32 v48, -v46, v47, 1.0
	v_mul_f32_e32 v50, v49, v45
	v_fmac_f32_e32 v47, v48, v47
	v_fma_f32 v48, -v21, v50, v49
	v_mul_f32_e32 v51, v43, v47
	v_fmac_f32_e32 v50, v48, v45
	v_fma_f32 v48, -v46, v51, v43
	v_fma_f32 v21, -v21, v50, v49
	v_add_f32_e32 v49, v31, v37
	v_fmac_f32_e32 v51, v48, v47
	v_div_fmas_f32 v21, v21, v45, v50
	v_add_f32_e32 v45, v49, v44
	v_fma_f32 v46, -v46, v51, v43
	s_mov_b32 vcc_lo, s7
	v_div_fixup_f32 v43, v21, v39, v20
	v_sub_f32_e32 v21, v44, v37
	v_div_fmas_f32 v44, v46, v47, v51
	v_add_f32_e32 v37, v38, v40
	v_fmac_f32_e32 v45, v20, v43
	v_fmamk_f32 v21, v21, 0x41000000, v32
	v_div_fixup_f32 v44, v44, 0x41200000, |v36|
	v_mul_f32_e32 v20, v20, v43
	v_fmac_f32_e32 v37, v43, v43
	v_mul_f32_e32 v36, v36, v45
	v_cmp_gt_f32_e64 s7, |v45|, v44
	v_fma_f32 v20, 0x40400000, |v20|, v21
	v_cmp_lt_f32_e32 vcc_lo, 0, v36
	v_mov_b32_e32 v36, v45
	v_fma_f32 v20, |v35|, v37, v20
	s_and_b32 s7, vcc_lo, s7
	s_xor_b32 s7, s99, s7
	s_cmp_eq_u32 s97, 50
	v_add_f32_e32 v20, v42, v20
	s_cselect_b32 s8, -1, 0
	s_andn2_b32 s9, s98, exec_lo
	s_and_b32 s8, s8, exec_lo
                                        ; implicit-def: $sgpr99
	s_or_b32 s98, s9, s8
.LBB8_124:                              ;   in Loop: Header=BB8_125 Depth=3
	s_or_b32 exec_lo, exec_lo, s104
	s_and_b32 s8, exec_lo, s98
	s_or_b32 s28, s8, s28
	s_andn2_b32 s8, s99, exec_lo
	s_and_b32 s7, s7, exec_lo
	s_or_b32 s99, s8, s7
	s_andn2_b32 exec_lo, exec_lo, s28
	s_cbranch_execz .LBB8_168
.LBB8_125:                              ;   Parent Loop BB8_4 Depth=1
                                        ;     Parent Loop BB8_44 Depth=2
                                        ; =>    This Loop Header: Depth=3
                                        ;         Child Loop BB8_162 Depth 4
                                        ;         Child Loop BB8_166 Depth 4
	v_mul_f32_e32 v20, s46, v20
	s_or_b32 s98, s98, exec_lo
                                        ; implicit-def: $sgpr7
	v_cmp_nle_f32_e64 s8, |v36|, v20
                                        ; implicit-def: $vgpr20
	s_and_saveexec_b32 s104, s8
	s_cbranch_execz .LBB8_124
; %bb.126:                              ;   in Loop: Header=BB8_125 Depth=3
	global_load_dwordx2 v[20:21], v[9:10], off
	s_xor_b32 s8, s99, -1
                                        ; implicit-def: $vgpr44
	s_and_saveexec_b32 s7, s8
	s_xor_b32 s7, exec_lo, s7
	s_cbranch_execz .LBB8_128
; %bb.127:                              ;   in Loop: Header=BB8_125 Depth=3
	v_fma_f32 v41, v43, v43, v38
	v_fma_f32 v42, v43, v43, v40
	v_cndmask_b32_e64 v38, v38, v41, s2
	v_cndmask_b32_e64 v40, v42, v40, s2
	s_waitcnt vmcnt(0)
	v_fma_f32 v41, -v38, v20, v36
	v_fma_f32 v44, -v40, v21, v41
.LBB8_128:                              ;   in Loop: Header=BB8_125 Depth=3
	s_andn2_saveexec_b32 s7, s7
	s_cbranch_execz .LBB8_134
; %bb.129:                              ;   in Loop: Header=BB8_125 Depth=3
                                        ; implicit-def: $vgpr44
	s_and_saveexec_b32 s9, s3
	s_xor_b32 s9, exec_lo, s9
	s_cbranch_execz .LBB8_131
; %bb.130:                              ;   in Loop: Header=BB8_125 Depth=3
	global_load_dword v41, v[11:12], off offset:4
	s_waitcnt vmcnt(0)
	v_mul_f32_e32 v42, v33, v41
	v_mul_f32_e32 v41, v41, v42
	v_div_scale_f32 v42, null, v21, v21, v41
	v_div_scale_f32 v45, vcc_lo, v41, v21, v41
	v_rcp_f32_e32 v43, v42
	v_fma_f32 v44, -v42, v43, 1.0
	v_fmac_f32_e32 v43, v44, v43
	v_mul_f32_e32 v44, v45, v43
	v_fma_f32 v46, -v42, v44, v45
	v_fmac_f32_e32 v44, v46, v43
	v_fma_f32 v42, -v42, v44, v45
	v_div_fmas_f32 v42, v42, v43, v44
	v_div_fixup_f32 v41, v42, v21, v41
	v_div_scale_f32 v42, null, v21, v21, v41
	v_rcp_f32_e32 v43, v42
	v_fma_f32 v44, -v42, v43, 1.0
	v_fmac_f32_e32 v43, v44, v43
	v_div_scale_f32 v44, vcc_lo, v41, v21, v41
	v_mul_f32_e32 v45, v44, v43
	v_fma_f32 v46, -v42, v45, v44
	v_fmac_f32_e32 v45, v46, v43
	v_fma_f32 v42, -v42, v45, v44
	v_div_fmas_f32 v42, v42, v43, v45
	v_fma_f32 v43, -v37, v20, v36
	v_div_fixup_f32 v41, v42, v21, v41
	v_sub_f32_e32 v44, v43, v41
.LBB8_131:                              ;   in Loop: Header=BB8_125 Depth=3
	s_andn2_saveexec_b32 s9, s9
	s_cbranch_execz .LBB8_133
; %bb.132:                              ;   in Loop: Header=BB8_125 Depth=3
	global_load_dword v41, v[11:12], off
	s_waitcnt vmcnt(0)
	v_mul_f32_e32 v42, v34, v41
	v_mul_f32_e32 v41, v41, v42
	v_div_scale_f32 v42, null, v20, v20, v41
	v_div_scale_f32 v45, vcc_lo, v41, v20, v41
	v_rcp_f32_e32 v43, v42
	v_fma_f32 v44, -v42, v43, 1.0
	v_fmac_f32_e32 v43, v44, v43
	v_mul_f32_e32 v44, v45, v43
	v_fma_f32 v46, -v42, v44, v45
	v_fmac_f32_e32 v44, v46, v43
	v_fma_f32 v42, -v42, v44, v45
	v_div_fmas_f32 v42, v42, v43, v44
	v_div_fixup_f32 v41, v42, v20, v41
	v_div_scale_f32 v42, null, v20, v20, v41
	v_rcp_f32_e32 v43, v42
	v_fma_f32 v44, -v42, v43, 1.0
	v_fmac_f32_e32 v43, v44, v43
	v_div_scale_f32 v44, vcc_lo, v41, v20, v41
	v_mul_f32_e32 v45, v44, v43
	v_fma_f32 v46, -v42, v45, v44
	v_fmac_f32_e32 v45, v46, v43
	v_fma_f32 v42, -v42, v45, v44
	v_div_fmas_f32 v42, v42, v43, v45
	v_fma_f32 v43, -v37, v21, v36
	v_div_fixup_f32 v41, v42, v20, v41
	v_sub_f32_e32 v44, v43, v41
.LBB8_133:                              ;   in Loop: Header=BB8_125 Depth=3
	s_or_b32 exec_lo, exec_lo, s9
.LBB8_134:                              ;   in Loop: Header=BB8_125 Depth=3
	s_or_b32 exec_lo, exec_lo, s7
	s_waitcnt vmcnt(0)
	v_mul_f32_e32 v41, v20, v21
	v_add_f32_e32 v43, v20, v21
	s_mov_b32 s7, exec_lo
	v_mul_f32_e32 v45, v37, v41
	v_mul_f32_e32 v42, v36, v41
                                        ; implicit-def: $vgpr41
	v_fma_f32 v43, v36, v43, -v45
	v_cmpx_neq_f32_e32 0, v44
	s_xor_b32 s9, exec_lo, s7
	s_cbranch_execz .LBB8_140
; %bb.135:                              ;   in Loop: Header=BB8_125 Depth=3
	v_mul_f32_e32 v20, -4.0, v42
	v_mul_f32_e32 v20, v20, v44
	v_fmac_f32_e32 v20, v43, v43
	v_mul_f32_e64 v21, 0x4f800000, |v20|
	v_cmp_gt_f32_e64 vcc_lo, 0xf800000, |v20|
	v_cndmask_b32_e64 v20, |v20|, v21, vcc_lo
	v_sqrt_f32_e32 v21, v20
	v_add_nc_u32_e32 v38, -1, v21
	v_add_nc_u32_e32 v40, 1, v21
	v_fma_f32 v41, -v38, v21, v20
	v_fma_f32 v45, -v40, v21, v20
	v_cmp_ge_f32_e64 s7, 0, v41
                                        ; implicit-def: $vgpr41
	v_cndmask_b32_e64 v21, v21, v38, s7
	v_cmp_lt_f32_e64 s7, 0, v45
	v_cndmask_b32_e64 v21, v21, v40, s7
	s_mov_b32 s7, exec_lo
	v_mul_f32_e32 v38, 0x37800000, v21
	v_cndmask_b32_e32 v21, v21, v38, vcc_lo
	v_cmp_class_f32_e64 vcc_lo, v20, 0x260
	v_cndmask_b32_e32 v20, v21, v20, vcc_lo
	v_cmpx_ge_f32_e32 0, v43
	s_xor_b32 s7, exec_lo, s7
	s_cbranch_execz .LBB8_137
; %bb.136:                              ;   in Loop: Header=BB8_125 Depth=3
	v_sub_f32_e32 v20, v43, v20
	v_add_f32_e32 v21, v44, v44
	v_div_scale_f32 v38, null, v21, v21, v20
	v_rcp_f32_e32 v40, v38
	v_fma_f32 v41, -v38, v40, 1.0
	v_fmac_f32_e32 v40, v41, v40
	v_div_scale_f32 v41, vcc_lo, v20, v21, v20
	v_mul_f32_e32 v42, v41, v40
	v_fma_f32 v43, -v38, v42, v41
	v_fmac_f32_e32 v42, v43, v40
                                        ; implicit-def: $vgpr43
	v_fma_f32 v38, -v38, v42, v41
	v_div_fmas_f32 v38, v38, v40, v42
                                        ; implicit-def: $vgpr42
	v_div_fixup_f32 v41, v38, v21, v20
                                        ; implicit-def: $vgpr20
.LBB8_137:                              ;   in Loop: Header=BB8_125 Depth=3
	s_andn2_saveexec_b32 s7, s7
	s_cbranch_execz .LBB8_139
; %bb.138:                              ;   in Loop: Header=BB8_125 Depth=3
	v_add_f32_e32 v21, v42, v42
	v_add_f32_e32 v20, v43, v20
	v_div_scale_f32 v38, null, v20, v20, v21
	v_rcp_f32_e32 v40, v38
	v_fma_f32 v41, -v38, v40, 1.0
	v_fmac_f32_e32 v40, v41, v40
	v_div_scale_f32 v41, vcc_lo, v21, v20, v21
	v_mul_f32_e32 v42, v41, v40
	v_fma_f32 v43, -v38, v42, v41
	v_fmac_f32_e32 v42, v43, v40
	v_fma_f32 v38, -v38, v42, v41
	v_div_fmas_f32 v38, v38, v40, v42
	v_div_fixup_f32 v41, v38, v20, v21
.LBB8_139:                              ;   in Loop: Header=BB8_125 Depth=3
	s_or_b32 exec_lo, exec_lo, s7
                                        ; implicit-def: $vgpr43
                                        ; implicit-def: $vgpr42
                                        ; implicit-def: $vgpr20_vgpr21
                                        ; implicit-def: $vgpr40
                                        ; implicit-def: $vgpr38
.LBB8_140:                              ;   in Loop: Header=BB8_125 Depth=3
	s_andn2_saveexec_b32 s7, s9
	s_cbranch_execz .LBB8_152
; %bb.141:                              ;   in Loop: Header=BB8_125 Depth=3
	s_mov_b32 s9, exec_lo
	v_cmpx_eq_f32_e32 0, v43
	s_cbranch_execz .LBB8_151
; %bb.142:                              ;   in Loop: Header=BB8_125 Depth=3
                                        ; implicit-def: $vgpr43
	s_and_saveexec_b32 s21, s8
	s_xor_b32 s8, exec_lo, s21
; %bb.143:                              ;   in Loop: Header=BB8_125 Depth=3
	v_mul_f32_e32 v21, v21, v21
	v_mul_f32_e32 v20, v20, v20
	;; [unrolled: 1-line block ×3, first 2 shown]
                                        ; implicit-def: $vgpr40
	v_fmac_f32_e32 v43, v20, v38
                                        ; implicit-def: $vgpr20_vgpr21
                                        ; implicit-def: $vgpr38
; %bb.144:                              ;   in Loop: Header=BB8_125 Depth=3
	s_andn2_saveexec_b32 s8, s8
	s_cbranch_execz .LBB8_150
; %bb.145:                              ;   in Loop: Header=BB8_125 Depth=3
	v_add_f32_e32 v38, v38, v40
                                        ; implicit-def: $vgpr43
	s_and_saveexec_b32 s21, s3
	s_xor_b32 s21, exec_lo, s21
	s_cbranch_execz .LBB8_147
; %bb.146:                              ;   in Loop: Header=BB8_125 Depth=3
	global_load_dword v21, v[11:12], off offset:4
	v_mul_f32_e32 v20, v20, v20
	s_waitcnt vmcnt(0)
	v_mul_f32_e32 v43, v21, v21
	v_fmac_f32_e32 v43, v20, v38
                                        ; implicit-def: $vgpr20_vgpr21
                                        ; implicit-def: $vgpr38
.LBB8_147:                              ;   in Loop: Header=BB8_125 Depth=3
	s_andn2_saveexec_b32 s21, s21
	s_cbranch_execz .LBB8_149
; %bb.148:                              ;   in Loop: Header=BB8_125 Depth=3
	global_load_dword v20, v[11:12], off
	s_waitcnt vmcnt(0)
	v_mul_f32_e32 v43, v20, v20
	v_mul_f32_e32 v20, v21, v21
	v_fmac_f32_e32 v43, v20, v38
.LBB8_149:                              ;   in Loop: Header=BB8_125 Depth=3
	s_or_b32 exec_lo, exec_lo, s21
.LBB8_150:                              ;   in Loop: Header=BB8_125 Depth=3
	s_or_b32 exec_lo, exec_lo, s8
.LBB8_151:                              ;   in Loop: Header=BB8_125 Depth=3
	s_or_b32 exec_lo, exec_lo, s9
	v_div_scale_f32 v20, null, v43, v43, v42
	v_rcp_f32_e32 v21, v20
	v_fma_f32 v38, -v20, v21, 1.0
	v_fmac_f32_e32 v21, v38, v21
	v_div_scale_f32 v38, vcc_lo, v42, v43, v42
	v_mul_f32_e32 v40, v38, v21
	v_fma_f32 v41, -v20, v40, v38
	v_fmac_f32_e32 v40, v41, v21
	v_fma_f32 v20, -v20, v40, v38
	v_div_fmas_f32 v20, v20, v21, v40
	v_div_fixup_f32 v41, v20, v43, v42
.LBB8_152:                              ;   in Loop: Header=BB8_125 Depth=3
	s_or_b32 exec_lo, exec_lo, s7
	v_mul_f32_e32 v20, v36, v41
	s_mov_b32 s7, exec_lo
	v_cmpx_le_f32_e32 0, v20
	s_cbranch_execz .LBB8_154
; %bb.153:                              ;   in Loop: Header=BB8_125 Depth=3
	v_div_scale_f32 v20, null, v37, v37, -v36
	v_rcp_f32_e32 v21, v20
	v_fma_f32 v38, -v20, v21, 1.0
	v_fmac_f32_e32 v21, v38, v21
	v_div_scale_f32 v38, vcc_lo, -v36, v37, -v36
	v_mul_f32_e32 v40, v38, v21
	v_fma_f32 v41, -v20, v40, v38
	v_fmac_f32_e32 v40, v41, v21
	v_fma_f32 v20, -v20, v40, v38
	v_div_fmas_f32 v20, v20, v21, v40
	v_div_fixup_f32 v41, v20, v37, -v36
.LBB8_154:                              ;   in Loop: Header=BB8_125 Depth=3
	s_or_b32 exec_lo, exec_lo, s7
	v_cmp_lt_f32_e32 vcc_lo, 0, v36
	v_cmp_lt_f32_e64 s7, v35, v22
	v_cmp_lt_f32_e64 s8, v23, v35
	v_add_f32_e32 v21, v35, v41
	s_and_b32 vcc_lo, vcc_lo, s7
	v_cndmask_b32_e64 v20, v23, v35, s8
	v_cndmask_b32_e32 v22, v22, v35, vcc_lo
	v_cmp_nge_f32_e32 vcc_lo, 0, v36
	v_cndmask_b32_e32 v23, v20, v23, vcc_lo
	v_cmp_gt_f32_e32 vcc_lo, v21, v22
	v_cmp_lt_f32_e64 s7, v21, v23
	s_or_b32 s8, vcc_lo, s7
	s_and_saveexec_b32 s7, s8
	s_cbranch_execz .LBB8_160
; %bb.155:                              ;   in Loop: Header=BB8_125 Depth=3
	s_mov_b32 s8, exec_lo
                                        ; implicit-def: $vgpr41
	v_cmpx_ngt_f32_e32 0, v36
	s_xor_b32 s8, exec_lo, s8
; %bb.156:                              ;   in Loop: Header=BB8_125 Depth=3
	v_sub_f32_e32 v20, v23, v35
	v_mul_f32_e32 v41, 0.5, v20
; %bb.157:                              ;   in Loop: Header=BB8_125 Depth=3
	s_andn2_saveexec_b32 s8, s8
; %bb.158:                              ;   in Loop: Header=BB8_125 Depth=3
	v_sub_f32_e32 v20, v22, v35
	v_mul_f32_e32 v41, 0.5, v20
; %bb.159:                              ;   in Loop: Header=BB8_125 Depth=3
	s_or_b32 exec_lo, exec_lo, s8
.LBB8_160:                              ;   in Loop: Header=BB8_125 Depth=3
	s_or_b32 exec_lo, exec_lo, s7
	v_sub_f32_e32 v20, v39, v41
	v_mov_b32_e32 v38, 0
	v_mov_b32_e32 v42, 0
	;; [unrolled: 1-line block ×3, first 2 shown]
	global_store_dword v[14:15], v20, off
	s_and_saveexec_b32 vcc_hi, s5
	s_cbranch_execz .LBB8_164
; %bb.161:                              ;   in Loop: Header=BB8_125 Depth=3
	v_mov_b32_e32 v21, v8
	v_mov_b32_e32 v38, 0
	v_mov_b32_e32 v20, v7
	v_mov_b32_e32 v40, v13
	v_mov_b32_e32 v39, 0
	v_mov_b32_e32 v37, 0
	s_mov_b32 s21, 0
	s_mov_b64 s[8:9], s[30:31]
	s_inst_prefetch 0x1
	.p2align	6
.LBB8_162:                              ;   Parent Loop BB8_4 Depth=1
                                        ;     Parent Loop BB8_44 Depth=2
                                        ;       Parent Loop BB8_125 Depth=3
                                        ; =>      This Inner Loop Header: Depth=4
	global_load_dword v42, v[20:21], off
	v_add_nc_u32_e32 v40, -1, v40
	s_waitcnt vmcnt(0)
	v_sub_f32_e32 v42, v42, v41
	global_store_dword v[20:21], v42, off
	global_load_dword v43, v2, s[8:9]
	v_add_co_u32 v20, s7, v20, 4
	v_add_co_ci_u32_e64 v21, null, 0, v21, s7
	s_add_u32 s8, s8, 4
	s_addc_u32 s9, s9, 0
	s_waitcnt vmcnt(0)
	v_div_scale_f32 v44, null, v42, v42, v43
	v_div_scale_f32 v46, vcc_lo, v43, v42, v43
	v_rcp_f32_e32 v45, v44
	v_fma_f32 v47, -v44, v45, 1.0
	v_fmac_f32_e32 v45, v47, v45
	v_mul_f32_e32 v47, v46, v45
	v_fma_f32 v48, -v44, v47, v46
	v_fmac_f32_e32 v47, v48, v45
	v_fma_f32 v44, -v44, v47, v46
	v_div_fmas_f32 v44, v44, v45, v47
	v_cmp_eq_u32_e32 vcc_lo, 0, v40
	v_div_fixup_f32 v42, v44, v42, v43
	s_or_b32 s21, vcc_lo, s21
	v_fmac_f32_e32 v37, v43, v42
	v_fmac_f32_e32 v38, v42, v42
	v_add_f32_e32 v39, v39, v37
	s_andn2_b32 exec_lo, exec_lo, s21
	s_cbranch_execnz .LBB8_162
; %bb.163:                              ;   in Loop: Header=BB8_125 Depth=3
	s_inst_prefetch 0x2
	s_or_b32 exec_lo, exec_lo, s21
	v_and_b32_e32 v42, 0x7fffffff, v39
.LBB8_164:                              ;   in Loop: Header=BB8_125 Depth=3
	s_or_b32 exec_lo, exec_lo, vcc_hi
	v_mov_b32_e32 v40, 0
	v_mov_b32_e32 v44, 0
	s_and_saveexec_b32 vcc_hi, s4
	s_cbranch_execz .LBB8_123
; %bb.165:                              ;   in Loop: Header=BB8_125 Depth=3
	v_mov_b32_e32 v21, v19
	v_mov_b32_e32 v40, 0
	;; [unrolled: 1-line block ×4, first 2 shown]
	s_mov_b32 s21, 0
	s_mov_b64 s[8:9], s[42:43]
	s_mov_b32 s55, s36
	s_inst_prefetch 0x1
	.p2align	6
.LBB8_166:                              ;   Parent Loop BB8_4 Depth=1
                                        ;     Parent Loop BB8_44 Depth=2
                                        ;       Parent Loop BB8_125 Depth=3
                                        ; =>      This Inner Loop Header: Depth=4
	global_load_dword v39, v[20:21], off
	s_add_i32 s55, s55, -1
	s_waitcnt vmcnt(0)
	v_sub_f32_e32 v39, v39, v41
	global_store_dword v[20:21], v39, off
	global_load_dword v43, v2, s[8:9]
	v_add_co_u32 v20, s7, v20, -4
	v_add_co_ci_u32_e64 v21, null, -1, v21, s7
	s_add_u32 s8, s8, -4
	s_addc_u32 s9, s9, -1
	s_waitcnt vmcnt(0)
	v_div_scale_f32 v45, null, v39, v39, v43
	v_div_scale_f32 v48, vcc_lo, v43, v39, v43
	v_rcp_f32_e32 v46, v45
	v_fma_f32 v47, -v45, v46, 1.0
	v_fmac_f32_e32 v46, v47, v46
	v_mul_f32_e32 v47, v48, v46
	v_fma_f32 v49, -v45, v47, v48
	v_fmac_f32_e32 v47, v49, v46
	v_fma_f32 v45, -v45, v47, v48
	v_div_fmas_f32 v45, v45, v46, v47
	v_cmp_le_i32_e32 vcc_lo, s55, v13
	v_div_fixup_f32 v39, v45, v39, v43
	s_or_b32 s21, vcc_lo, s21
	v_fmac_f32_e32 v44, v43, v39
	v_fmac_f32_e32 v40, v39, v39
	v_add_f32_e32 v42, v42, v44
	s_andn2_b32 exec_lo, exec_lo, s21
	s_cbranch_execnz .LBB8_166
; %bb.167:                              ;   in Loop: Header=BB8_125 Depth=3
	s_inst_prefetch 0x2
	s_or_b32 exec_lo, exec_lo, s21
	s_branch .LBB8_123
.LBB8_168:                              ;   in Loop: Header=BB8_44 Depth=2
	s_or_b32 exec_lo, exec_lo, s28
	v_add_f32_e32 v34, v4, v35
.LBB8_169:                              ;   in Loop: Header=BB8_44 Depth=2
	s_or_b32 exec_lo, exec_lo, s96
                                        ; implicit-def: $vgpr7_vgpr8
                                        ; implicit-def: $vgpr35
                                        ; implicit-def: $vgpr36
	s_andn2_saveexec_b32 s5, s95
	s_cbranch_execz .LBB8_53
.LBB8_170:                              ;   in Loop: Header=BB8_44 Depth=2
	v_add_co_u32 v11, vcc_lo, v35, s38
	v_add_co_ci_u32_e64 v12, null, s39, v36, vcc_lo
	v_mov_b32_e32 v4, 0
	s_andn2_b32 vcc_lo, exec_lo, s88
	global_load_dwordx2 v[9:10], v[11:12], off offset:-8
	s_waitcnt vmcnt(0)
	v_mov_b32_e32 v15, v10
	v_add_f32_e32 v16, v30, v10
	s_cbranch_vccnz .LBB8_173
; %bb.171:                              ;   in Loop: Header=BB8_44 Depth=2
	v_mov_b32_e32 v14, v8
	v_mov_b32_e32 v4, 0
	;; [unrolled: 1-line block ×3, first 2 shown]
	s_mov_b64 s[2:3], s[30:31]
	s_mov_b32 s4, s87
	s_inst_prefetch 0x1
	.p2align	6
.LBB8_172:                              ;   Parent Loop BB8_4 Depth=1
                                        ;     Parent Loop BB8_44 Depth=2
                                        ; =>    This Inner Loop Header: Depth=3
	global_load_dword v17, v[13:14], off
	global_load_dword v18, v2, s[2:3]
	s_add_i32 s4, s4, -1
	s_add_u32 s2, s2, 4
	s_addc_u32 s3, s3, 0
	s_cmp_lg_u32 s4, 0
	s_waitcnt vmcnt(1)
	v_sub_f32_e32 v17, v17, v16
	s_waitcnt vmcnt(0)
	v_div_scale_f32 v19, null, v17, v17, v18
	v_div_scale_f32 v22, vcc_lo, v18, v17, v18
	v_rcp_f32_e32 v20, v19
	v_fma_f32 v21, -v19, v20, 1.0
	v_fmac_f32_e32 v20, v21, v20
	v_mul_f32_e32 v21, v22, v20
	v_fma_f32 v23, -v19, v21, v22
	v_fmac_f32_e32 v21, v23, v20
	v_fma_f32 v19, -v19, v21, v22
	v_div_fmas_f32 v19, v19, v20, v21
	v_add_co_u32 v13, vcc_lo, v13, 4
	v_add_co_ci_u32_e64 v14, null, 0, v14, vcc_lo
	v_div_fixup_f32 v17, v19, v17, v18
	v_fmac_f32_e32 v4, v18, v17
	s_cbranch_scc1 .LBB8_172
.LBB8_173:                              ;   in Loop: Header=BB8_44 Depth=2
	s_inst_prefetch 0x2
	global_load_dwordx2 v[17:18], v2, s[40:41] offset:-8
	v_sub_f32_e32 v19, v9, v16
	s_waitcnt vmcnt(0)
	v_mul_f32_e32 v14, v17, v17
	v_div_scale_f32 v13, null, v19, v19, v14
	v_div_scale_f32 v17, vcc_lo, v14, v19, v14
	v_rcp_f32_e32 v20, v13
	v_fma_f32 v16, -v13, v20, 1.0
	v_fmac_f32_e32 v20, v16, v20
	v_mul_f32_e32 v21, v17, v20
	v_fma_f32 v16, -v13, v21, v17
	v_fmac_f32_e32 v21, v16, v20
	v_add_f32_e32 v16, v31, v4
	v_fma_f32 v13, -v13, v21, v17
	v_mul_f32_e32 v17, v18, v18
	v_div_fmas_f32 v4, v13, v20, v21
	v_add_f32_e32 v13, 0, v16
	v_add_f32_e32 v18, v17, v17
	v_div_fixup_f32 v4, v4, v19, v14
	v_mul_f32_e32 v18, v31, v18
	v_add_f32_e32 v4, v13, v4
	v_cmp_ngt_f32_e32 vcc_lo, v4, v18
	v_sub_f32_e32 v18, v10, v9
                                        ; implicit-def: $vgpr4
	s_and_saveexec_b32 s2, vcc_lo
	s_xor_b32 s3, exec_lo, s2
	s_cbranch_execz .LBB8_181
; %bb.174:                              ;   in Loop: Header=BB8_44 Depth=2
	v_add_f32_e32 v4, v29, v18
	v_div_scale_f32 v19, null, v29, v29, v17
	v_div_scale_f32 v9, null, v4, v4, v14
	v_rcp_f32_e32 v21, v19
	v_div_scale_f32 v33, vcc_lo, v14, v4, v14
	v_rcp_f32_e32 v20, v9
	v_fma_f32 v23, -v19, v21, 1.0
	v_fma_f32 v22, -v9, v20, 1.0
	v_fmac_f32_e32 v21, v23, v21
	v_fmac_f32_e32 v20, v22, v20
	v_div_scale_f32 v22, s2, v17, v29, v17
	v_mul_f32_e32 v23, v33, v20
	v_mul_f32_e32 v34, v22, v21
	v_fma_f32 v35, -v9, v23, v33
	v_fma_f32 v36, -v19, v34, v22
	v_fmac_f32_e32 v23, v35, v20
	v_fmac_f32_e32 v34, v36, v21
	v_fma_f32 v9, -v9, v23, v33
	v_fma_f32 v19, -v19, v34, v22
	v_div_fmas_f32 v9, v9, v20, v23
	s_mov_b32 vcc_lo, s2
	v_div_fmas_f32 v19, v19, v21, v34
	v_div_fixup_f32 v4, v9, v4, v14
	v_div_fixup_f32 v9, v19, v29, v17
	v_add_f32_e32 v4, v4, v9
	v_cmp_nle_f32_e32 vcc_lo, v16, v4
	v_mov_b32_e32 v4, v29
	s_and_saveexec_b32 s4, vcc_lo
	s_cbranch_execz .LBB8_180
; %bb.175:                              ;   in Loop: Header=BB8_44 Depth=2
	v_mul_f32_e32 v9, v18, v17
	v_fma_f32 v4, -v18, v13, v14
	v_mul_f32_e32 v16, 4.0, v9
	v_add_f32_e32 v14, v17, v4
	v_mul_f32_e32 v4, v13, v16
	v_fmac_f32_e32 v4, v14, v14
	v_mul_f32_e32 v16, 0x4f800000, v4
	v_cmp_gt_f32_e32 vcc_lo, 0xf800000, v4
	v_cndmask_b32_e32 v4, v4, v16, vcc_lo
	v_sqrt_f32_e32 v16, v4
	v_add_nc_u32_e32 v17, -1, v16
	v_add_nc_u32_e32 v18, 1, v16
	v_fma_f32 v19, -v17, v16, v4
	v_fma_f32 v20, -v18, v16, v4
	v_cmp_ge_f32_e64 s2, 0, v19
	v_cndmask_b32_e64 v16, v16, v17, s2
	v_cmp_lt_f32_e64 s2, 0, v20
	v_cndmask_b32_e64 v16, v16, v18, s2
	s_mov_b32 s2, exec_lo
	v_mul_f32_e32 v17, 0x37800000, v16
	v_cndmask_b32_e32 v16, v16, v17, vcc_lo
	v_cmp_class_f32_e64 vcc_lo, v4, 0x260
	v_cndmask_b32_e32 v16, v16, v4, vcc_lo
                                        ; implicit-def: $vgpr4
	v_cmpx_ngt_f32_e32 0, v14
	s_xor_b32 s2, exec_lo, s2
	s_cbranch_execz .LBB8_177
; %bb.176:                              ;   in Loop: Header=BB8_44 Depth=2
	v_add_f32_e32 v4, v14, v16
	v_add_f32_e32 v9, v13, v13
	v_div_scale_f32 v13, null, v9, v9, v4
	v_rcp_f32_e32 v14, v13
	v_fma_f32 v16, -v13, v14, 1.0
	v_fmac_f32_e32 v14, v16, v14
	v_div_scale_f32 v16, vcc_lo, v4, v9, v4
	v_mul_f32_e32 v17, v16, v14
	v_fma_f32 v18, -v13, v17, v16
	v_fmac_f32_e32 v17, v18, v14
	v_fma_f32 v13, -v13, v17, v16
                                        ; implicit-def: $vgpr16
	v_div_fmas_f32 v13, v13, v14, v17
                                        ; implicit-def: $vgpr14
	v_div_fixup_f32 v4, v13, v9, v4
                                        ; implicit-def: $vgpr9
.LBB8_177:                              ;   in Loop: Header=BB8_44 Depth=2
	s_andn2_saveexec_b32 s2, s2
	s_cbranch_execz .LBB8_179
; %bb.178:                              ;   in Loop: Header=BB8_44 Depth=2
	v_add_f32_e32 v4, v9, v9
	v_sub_f32_e32 v9, v16, v14
	v_div_scale_f32 v13, null, v9, v9, v4
	v_rcp_f32_e32 v14, v13
	v_fma_f32 v16, -v13, v14, 1.0
	v_fmac_f32_e32 v14, v16, v14
	v_div_scale_f32 v16, vcc_lo, v4, v9, v4
	v_mul_f32_e32 v17, v16, v14
	v_fma_f32 v18, -v13, v17, v16
	v_fmac_f32_e32 v17, v18, v14
	v_fma_f32 v13, -v13, v17, v16
	v_div_fmas_f32 v13, v13, v14, v17
	v_div_fixup_f32 v4, v13, v9, v4
.LBB8_179:                              ;   in Loop: Header=BB8_44 Depth=2
	s_or_b32 exec_lo, exec_lo, s2
.LBB8_180:                              ;   in Loop: Header=BB8_44 Depth=2
	s_or_b32 exec_lo, exec_lo, s4
                                        ; implicit-def: $vgpr18
                                        ; implicit-def: $vgpr13
                                        ; implicit-def: $vgpr14
                                        ; implicit-def: $vgpr17
.LBB8_181:                              ;   in Loop: Header=BB8_44 Depth=2
	s_or_saveexec_b32 s3, s3
	v_mov_b32_e32 v16, v30
	v_mov_b32_e32 v9, v29
	s_xor_b32 exec_lo, exec_lo, s3
	s_cbranch_execz .LBB8_187
; %bb.182:                              ;   in Loop: Header=BB8_44 Depth=2
	v_mul_f32_e32 v9, v18, v17
	v_fma_f32 v4, -v18, v13, v14
	v_mul_f32_e32 v16, 4.0, v9
	v_add_f32_e32 v14, v17, v4
	v_mul_f32_e32 v4, v13, v16
	v_fmac_f32_e32 v4, v14, v14
	v_mul_f32_e32 v16, 0x4f800000, v4
	v_cmp_gt_f32_e32 vcc_lo, 0xf800000, v4
	v_cndmask_b32_e32 v4, v4, v16, vcc_lo
	v_sqrt_f32_e32 v16, v4
	v_add_nc_u32_e32 v17, -1, v16
	v_add_nc_u32_e32 v18, 1, v16
	v_fma_f32 v19, -v17, v16, v4
	v_fma_f32 v20, -v18, v16, v4
	v_cmp_ge_f32_e64 s2, 0, v19
	v_cndmask_b32_e64 v16, v16, v17, s2
	v_cmp_lt_f32_e64 s2, 0, v20
	v_cndmask_b32_e64 v16, v16, v18, s2
	s_mov_b32 s2, exec_lo
	v_mul_f32_e32 v17, 0x37800000, v16
	v_cndmask_b32_e32 v16, v16, v17, vcc_lo
	v_cmp_class_f32_e64 vcc_lo, v4, 0x260
	v_cndmask_b32_e32 v16, v16, v4, vcc_lo
                                        ; implicit-def: $vgpr4
	v_cmpx_ngt_f32_e32 0, v14
	s_xor_b32 s2, exec_lo, s2
	s_cbranch_execz .LBB8_184
; %bb.183:                              ;   in Loop: Header=BB8_44 Depth=2
	v_add_f32_e32 v4, v14, v16
	v_add_f32_e32 v9, v13, v13
	v_div_scale_f32 v13, null, v9, v9, v4
	v_rcp_f32_e32 v14, v13
	v_fma_f32 v16, -v13, v14, 1.0
	v_fmac_f32_e32 v14, v16, v14
	v_div_scale_f32 v16, vcc_lo, v4, v9, v4
	v_mul_f32_e32 v17, v16, v14
	v_fma_f32 v18, -v13, v17, v16
	v_fmac_f32_e32 v17, v18, v14
	v_fma_f32 v13, -v13, v17, v16
                                        ; implicit-def: $vgpr16
	v_div_fmas_f32 v13, v13, v14, v17
                                        ; implicit-def: $vgpr14
	v_div_fixup_f32 v4, v13, v9, v4
                                        ; implicit-def: $vgpr9
.LBB8_184:                              ;   in Loop: Header=BB8_44 Depth=2
	s_andn2_saveexec_b32 s2, s2
	s_cbranch_execz .LBB8_186
; %bb.185:                              ;   in Loop: Header=BB8_44 Depth=2
	v_add_f32_e32 v4, v9, v9
	v_sub_f32_e32 v9, v16, v14
	v_div_scale_f32 v13, null, v9, v9, v4
	v_rcp_f32_e32 v14, v13
	v_fma_f32 v16, -v13, v14, 1.0
	v_fmac_f32_e32 v14, v16, v14
	v_div_scale_f32 v16, vcc_lo, v4, v9, v4
	v_mul_f32_e32 v17, v16, v14
	v_fma_f32 v18, -v13, v17, v16
	v_fmac_f32_e32 v17, v18, v14
	v_fma_f32 v13, -v13, v17, v16
	v_div_fmas_f32 v13, v13, v14, v17
	v_div_fixup_f32 v4, v13, v9, v4
.LBB8_186:                              ;   in Loop: Header=BB8_44 Depth=2
	s_or_b32 exec_lo, exec_lo, s2
	v_mov_b32_e32 v16, 0
	v_mov_b32_e32 v9, v30
.LBB8_187:                              ;   in Loop: Header=BB8_44 Depth=2
	s_or_b32 exec_lo, exec_lo, s3
	v_mov_b32_e32 v14, v8
	v_mov_b32_e32 v13, v7
	s_andn2_b32 vcc_lo, exec_lo, s89
	s_mov_b32 s2, s36
	s_cbranch_vccnz .LBB8_190
.LBB8_188:                              ;   Parent Loop BB8_4 Depth=1
                                        ;     Parent Loop BB8_44 Depth=2
                                        ; =>    This Inner Loop Header: Depth=3
	global_load_dword v15, v[13:14], off
	s_add_i32 s2, s2, -1
	s_cmp_eq_u32 s2, 0
	s_waitcnt vmcnt(0)
	v_sub_f32_e32 v15, v15, v10
	global_store_dword v[13:14], v15, off
	v_add_co_u32 v13, vcc_lo, v13, 4
	v_add_co_ci_u32_e64 v14, null, 0, v14, vcc_lo
	s_cbranch_scc0 .LBB8_188
; %bb.189:                              ;   in Loop: Header=BB8_44 Depth=2
	global_load_dword v15, v[11:12], off offset:-4
.LBB8_190:                              ;   in Loop: Header=BB8_44 Depth=2
	s_waitcnt vmcnt(0)
	v_sub_f32_e32 v13, v15, v10
	v_mov_b32_e32 v17, 0
	v_mov_b32_e32 v14, 0
	v_mov_b32_e32 v18, 0
	s_andn2_b32 vcc_lo, exec_lo, s89
	global_store_dword v[11:12], v13, off offset:-4
	s_cbranch_vccnz .LBB8_194
; %bb.191:                              ;   in Loop: Header=BB8_44 Depth=2
	v_mov_b32_e32 v14, v8
	v_mov_b32_e32 v17, 0
	;; [unrolled: 1-line block ×5, first 2 shown]
	s_mov_b64 s[2:3], s[30:31]
	s_mov_b32 s4, s36
	s_inst_prefetch 0x1
	.p2align	6
.LBB8_192:                              ;   Parent Loop BB8_4 Depth=1
                                        ;     Parent Loop BB8_44 Depth=2
                                        ; =>    This Inner Loop Header: Depth=3
	global_load_dword v19, v[13:14], off
	s_add_i32 s4, s4, -1
	s_waitcnt vmcnt(0)
	v_sub_f32_e32 v19, v19, v4
	global_store_dword v[13:14], v19, off
	global_load_dword v20, v2, s[2:3]
	s_add_u32 s2, s2, 4
	s_addc_u32 s3, s3, 0
	s_cmp_eq_u32 s4, 0
	s_waitcnt vmcnt(0)
	v_div_scale_f32 v21, null, v19, v19, v20
	v_div_scale_f32 v33, vcc_lo, v20, v19, v20
	v_rcp_f32_e32 v22, v21
	v_fma_f32 v23, -v21, v22, 1.0
	v_fmac_f32_e32 v22, v23, v22
	v_mul_f32_e32 v23, v33, v22
	v_fma_f32 v34, -v21, v23, v33
	v_fmac_f32_e32 v23, v34, v22
	v_fma_f32 v21, -v21, v23, v33
	v_div_fmas_f32 v21, v21, v22, v23
	v_add_co_u32 v13, vcc_lo, v13, 4
	v_add_co_ci_u32_e64 v14, null, 0, v14, vcc_lo
	v_div_fixup_f32 v19, v21, v19, v20
	v_fmac_f32_e32 v18, v20, v19
	v_fmac_f32_e32 v17, v19, v19
	v_add_f32_e32 v15, v15, v18
	s_cbranch_scc0 .LBB8_192
; %bb.193:                              ;   in Loop: Header=BB8_44 Depth=2
	s_inst_prefetch 0x2
	global_load_dword v13, v[11:12], off offset:-4
	v_and_b32_e32 v14, 0x7fffffff, v15
.LBB8_194:                              ;   in Loop: Header=BB8_44 Depth=2
	s_waitcnt vmcnt(0)
	v_sub_f32_e32 v13, v13, v4
	s_mov_b32 s7, exec_lo
	global_store_dword v[11:12], v13, off offset:-4
	global_load_dword v15, v2, s[40:41] offset:-4
	s_waitcnt vmcnt(0)
	v_div_scale_f32 v19, null, v13, v13, v15
	v_rcp_f32_e32 v20, v19
	v_fma_f32 v21, -v19, v20, 1.0
	v_fmac_f32_e32 v20, v21, v20
	v_div_scale_f32 v21, vcc_lo, v15, v13, v15
	v_mul_f32_e32 v22, v21, v20
	v_fma_f32 v23, -v19, v22, v21
	v_fmac_f32_e32 v22, v23, v20
	v_fma_f32 v19, -v19, v22, v21
	v_div_fmas_f32 v19, v19, v20, v22
	v_div_fixup_f32 v19, v19, v13, v15
	v_fma_f32 v20, v15, v19, 0
	v_fma_f32 v15, v19, v19, v17
	v_add_f32_e32 v21, v18, v20
	v_add_f32_e32 v14, v14, v20
	;; [unrolled: 1-line block ×3, first 2 shown]
	v_mul_f32_e32 v21, 0xc1000000, v21
	v_fma_f32 v21, |v4|, v15, v21
	v_sub_f32_e32 v21, v21, v20
	v_add_f32_e32 v21, v31, v21
	v_add_f32_e32 v21, v14, v21
	v_add_f32_e32 v14, v18, v20
	v_mul_f32_e32 v18, s46, v21
	v_cmpx_nle_f32_e64 |v14|, v18
	s_cbranch_execz .LBB8_236
; %bb.195:                              ;   in Loop: Header=BB8_44 Depth=2
	global_load_dword v20, v[11:12], off offset:-8
	v_mul_f32_e32 v18, v19, v19
	v_cmp_lt_f32_e64 s2, 0, v14
	v_cmp_lt_f32_e64 s3, v4, v9
	s_mov_b32 s4, exec_lo
	s_waitcnt vmcnt(0)
	v_fma_f32 v17, -v17, v20, v14
	v_fma_f32 v18, -v13, v18, v17
                                        ; implicit-def: $vgpr17
	v_cmpx_neq_f32_e32 0, v18
	s_xor_b32 s8, exec_lo, s4
	s_cbranch_execz .LBB8_201
; %bb.196:                              ;   in Loop: Header=BB8_44 Depth=2
	v_mul_f32_e32 v17, v13, v20
	v_add_f32_e32 v20, v13, v20
	v_mul_f32_e32 v19, v14, v17
	v_mul_f32_e32 v17, v15, v17
	v_mul_f32_e32 v21, -4.0, v19
	v_fma_f32 v20, v14, v20, -v17
	v_mul_f32_e64 v17, v21, |v18|
	v_fmac_f32_e32 v17, v20, v20
	v_mul_f32_e64 v21, 0x4f800000, |v17|
	v_cmp_gt_f32_e64 vcc_lo, 0xf800000, |v17|
	v_cndmask_b32_e64 v17, |v17|, v21, vcc_lo
	v_sqrt_f32_e32 v21, v17
	v_add_nc_u32_e32 v22, -1, v21
	v_add_nc_u32_e32 v23, 1, v21
	v_fma_f32 v33, -v22, v21, v17
	v_fma_f32 v34, -v23, v21, v17
	v_cmp_ge_f32_e64 s4, 0, v33
	v_cndmask_b32_e64 v21, v21, v22, s4
	v_cmp_lt_f32_e64 s4, 0, v34
	v_cndmask_b32_e64 v21, v21, v23, s4
	s_mov_b32 s4, exec_lo
	v_mul_f32_e32 v22, 0x37800000, v21
	v_cndmask_b32_e32 v21, v21, v22, vcc_lo
	v_cmp_class_f32_e64 vcc_lo, v17, 0x260
	v_cndmask_b32_e32 v21, v21, v17, vcc_lo
                                        ; implicit-def: $vgpr17
	v_cmpx_le_f32_e32 0, v20
	s_xor_b32 s4, exec_lo, s4
	s_cbranch_execz .LBB8_198
; %bb.197:                              ;   in Loop: Header=BB8_44 Depth=2
	v_add_f32_e32 v17, v20, v21
	v_add_f32_e64 v18, |v18|, |v18|
	v_div_scale_f32 v19, null, v18, v18, v17
	v_rcp_f32_e32 v20, v19
	v_fma_f32 v21, -v19, v20, 1.0
	v_fmac_f32_e32 v20, v21, v20
	v_div_scale_f32 v21, vcc_lo, v17, v18, v17
	v_mul_f32_e32 v22, v21, v20
	v_fma_f32 v23, -v19, v22, v21
	v_fmac_f32_e32 v22, v23, v20
	v_fma_f32 v19, -v19, v22, v21
                                        ; implicit-def: $vgpr21
	v_div_fmas_f32 v19, v19, v20, v22
                                        ; implicit-def: $vgpr20
	v_div_fixup_f32 v17, v19, v18, v17
                                        ; implicit-def: $vgpr19
.LBB8_198:                              ;   in Loop: Header=BB8_44 Depth=2
	s_andn2_saveexec_b32 s4, s4
	s_cbranch_execz .LBB8_200
; %bb.199:                              ;   in Loop: Header=BB8_44 Depth=2
	v_add_f32_e32 v17, v19, v19
	v_sub_f32_e32 v18, v20, v21
	v_div_scale_f32 v19, null, v18, v18, v17
	v_rcp_f32_e32 v20, v19
	v_fma_f32 v21, -v19, v20, 1.0
	v_fmac_f32_e32 v20, v21, v20
	v_div_scale_f32 v21, vcc_lo, v17, v18, v17
	v_mul_f32_e32 v22, v21, v20
	v_fma_f32 v23, -v19, v22, v21
	v_fmac_f32_e32 v22, v23, v20
	v_fma_f32 v19, -v19, v22, v21
	v_div_fmas_f32 v19, v19, v20, v22
	v_div_fixup_f32 v17, v19, v18, v17
.LBB8_200:                              ;   in Loop: Header=BB8_44 Depth=2
	s_or_b32 exec_lo, exec_lo, s4
.LBB8_201:                              ;   in Loop: Header=BB8_44 Depth=2
	s_or_saveexec_b32 s4, s8
	s_and_b32 vcc_lo, s3, s2
	v_cndmask_b32_e32 v9, v9, v4, vcc_lo
	s_xor_b32 exec_lo, exec_lo, s4
; %bb.202:                              ;   in Loop: Header=BB8_44 Depth=2
	v_sub_f32_e32 v17, v9, v4
; %bb.203:                              ;   in Loop: Header=BB8_44 Depth=2
	s_or_b32 exec_lo, exec_lo, s4
	v_mul_f32_e32 v18, v14, v17
	s_mov_b32 s2, exec_lo
	v_cmpx_lt_f32_e32 0, v18
	s_cbranch_execz .LBB8_205
; %bb.204:                              ;   in Loop: Header=BB8_44 Depth=2
	v_div_scale_f32 v17, null, v15, v15, -v14
	v_rcp_f32_e32 v18, v17
	v_fma_f32 v19, -v17, v18, 1.0
	v_fmac_f32_e32 v18, v19, v18
	v_div_scale_f32 v19, vcc_lo, -v14, v15, -v14
	v_mul_f32_e32 v20, v19, v18
	v_fma_f32 v21, -v17, v20, v19
	v_fmac_f32_e32 v20, v21, v18
	v_fma_f32 v17, -v17, v20, v19
	v_div_fmas_f32 v17, v17, v18, v20
	v_div_fixup_f32 v17, v17, v15, -v14
.LBB8_205:                              ;   in Loop: Header=BB8_44 Depth=2
	s_or_b32 exec_lo, exec_lo, s2
	v_cmp_lt_f32_e32 vcc_lo, v16, v4
	v_add_f32_e32 v18, v4, v17
	v_cndmask_b32_e32 v15, v16, v4, vcc_lo
	v_cmp_nge_f32_e32 vcc_lo, 0, v14
	v_cndmask_b32_e32 v15, v15, v16, vcc_lo
	v_cmp_gt_f32_e32 vcc_lo, v18, v9
	v_cmp_lt_f32_e64 s2, v18, v15
	s_or_b32 s3, vcc_lo, s2
	s_and_saveexec_b32 s2, s3
	s_cbranch_execz .LBB8_211
; %bb.206:                              ;   in Loop: Header=BB8_44 Depth=2
	s_mov_b32 s3, exec_lo
                                        ; implicit-def: $vgpr17
	v_cmpx_ngt_f32_e32 0, v14
	s_xor_b32 s3, exec_lo, s3
; %bb.207:                              ;   in Loop: Header=BB8_44 Depth=2
	v_sub_f32_e32 v14, v15, v4
	v_mul_f32_e32 v17, 0.5, v14
; %bb.208:                              ;   in Loop: Header=BB8_44 Depth=2
	s_andn2_saveexec_b32 s3, s3
; %bb.209:                              ;   in Loop: Header=BB8_44 Depth=2
	v_sub_f32_e32 v14, v9, v4
	v_mul_f32_e32 v17, 0.5, v14
; %bb.210:                              ;   in Loop: Header=BB8_44 Depth=2
	s_or_b32 exec_lo, exec_lo, s3
.LBB8_211:                              ;   in Loop: Header=BB8_44 Depth=2
	s_or_b32 exec_lo, exec_lo, s2
	v_mov_b32_e32 v16, 0
	v_mov_b32_e32 v14, 0
	v_mov_b32_e32 v18, 0
	s_andn2_b32 vcc_lo, exec_lo, s89
	s_cbranch_vccnz .LBB8_215
; %bb.212:                              ;   in Loop: Header=BB8_44 Depth=2
	v_mov_b32_e32 v14, v8
	v_mov_b32_e32 v16, 0
	;; [unrolled: 1-line block ×5, first 2 shown]
	s_mov_b64 s[2:3], s[30:31]
	s_mov_b32 s4, s36
	s_inst_prefetch 0x1
	.p2align	6
.LBB8_213:                              ;   Parent Loop BB8_4 Depth=1
                                        ;     Parent Loop BB8_44 Depth=2
                                        ; =>    This Inner Loop Header: Depth=3
	global_load_dword v20, v[13:14], off
	s_add_i32 s4, s4, -1
	s_waitcnt vmcnt(0)
	v_sub_f32_e32 v20, v20, v17
	global_store_dword v[13:14], v20, off
	global_load_dword v21, v2, s[2:3]
	s_add_u32 s2, s2, 4
	s_addc_u32 s3, s3, 0
	s_cmp_eq_u32 s4, 0
	s_waitcnt vmcnt(0)
	v_div_scale_f32 v22, null, v20, v20, v21
	v_div_scale_f32 v34, vcc_lo, v21, v20, v21
	v_rcp_f32_e32 v23, v22
	v_fma_f32 v33, -v22, v23, 1.0
	v_fmac_f32_e32 v23, v33, v23
	v_mul_f32_e32 v33, v34, v23
	v_fma_f32 v35, -v22, v33, v34
	v_fmac_f32_e32 v33, v35, v23
	v_fma_f32 v22, -v22, v33, v34
	v_div_fmas_f32 v22, v22, v23, v33
	v_add_co_u32 v13, vcc_lo, v13, 4
	v_add_co_ci_u32_e64 v14, null, 0, v14, vcc_lo
	v_div_fixup_f32 v20, v22, v20, v21
	v_fmac_f32_e32 v18, v21, v20
	v_fmac_f32_e32 v16, v20, v20
	v_add_f32_e32 v19, v19, v18
	s_cbranch_scc0 .LBB8_213
; %bb.214:                              ;   in Loop: Header=BB8_44 Depth=2
	s_inst_prefetch 0x2
	global_load_dword v13, v[11:12], off offset:-4
	v_and_b32_e32 v14, 0x7fffffff, v19
.LBB8_215:                              ;   in Loop: Header=BB8_44 Depth=2
	s_waitcnt vmcnt(0)
	v_sub_f32_e32 v13, v13, v17
	v_add_f32_e32 v4, v4, v17
	s_mov_b32 s4, exec_lo
	global_store_dword v[11:12], v13, off offset:-4
	global_load_dword v20, v2, s[40:41] offset:-4
	s_waitcnt vmcnt(0)
	v_div_scale_f32 v19, null, v13, v13, v20
	v_rcp_f32_e32 v21, v19
	v_fma_f32 v22, -v19, v21, 1.0
	v_fmac_f32_e32 v21, v22, v21
	v_div_scale_f32 v22, vcc_lo, v20, v13, v20
	v_mul_f32_e32 v23, v22, v21
	v_fma_f32 v33, -v19, v23, v22
	v_fmac_f32_e32 v23, v33, v21
	v_fma_f32 v19, -v19, v23, v22
	v_div_fmas_f32 v19, v19, v21, v23
	v_div_fixup_f32 v19, v19, v13, v20
	v_fma_f32 v20, v20, v19, 0
	v_fma_f32 v17, v19, v19, v16
	v_add_f32_e32 v21, v18, v20
	v_add_f32_e32 v14, v14, v20
	;; [unrolled: 1-line block ×3, first 2 shown]
	v_mul_f32_e32 v21, 0xc1000000, v21
	v_fma_f32 v17, |v4|, v17, v21
	v_sub_f32_e32 v17, v17, v20
	v_add_f32_e32 v17, v31, v17
	v_add_f32_e32 v17, v14, v17
	;; [unrolled: 1-line block ×3, first 2 shown]
	v_mul_f32_e32 v17, s46, v17
	v_cmpx_nle_f32_e64 |v14|, v17
	s_cbranch_execz .LBB8_235
; %bb.216:                              ;   in Loop: Header=BB8_44 Depth=2
	v_mul_f32_e32 v17, v19, v19
	s_mov_b32 s9, 1
	s_mov_b32 s8, 0
	s_branch .LBB8_218
.LBB8_217:                              ;   in Loop: Header=BB8_218 Depth=3
	s_waitcnt vmcnt(0)
	v_sub_f32_e32 v13, v13, v17
	v_add_f32_e32 v4, v4, v17
	s_add_i32 s2, s9, 1
	s_cmp_gt_u32 s9, 48
	s_cselect_b32 s9, -1, 0
	global_store_dword v[11:12], v13, off offset:-4
	global_load_dword v19, v2, s[40:41] offset:-4
	s_waitcnt vmcnt(0)
	v_div_scale_f32 v20, null, v13, v13, v19
	v_rcp_f32_e32 v21, v20
	v_fma_f32 v22, -v20, v21, 1.0
	v_fmac_f32_e32 v21, v22, v21
	v_div_scale_f32 v22, vcc_lo, v19, v13, v19
	v_mul_f32_e32 v23, v22, v21
	v_fma_f32 v33, -v20, v23, v22
	v_fmac_f32_e32 v23, v33, v21
	v_fma_f32 v20, -v20, v23, v22
	v_div_fmas_f32 v20, v20, v21, v23
	v_div_fixup_f32 v20, v20, v13, v19
	v_fma_f32 v19, v19, v20, 0
	v_fma_f32 v17, v20, v20, v16
	v_add_f32_e32 v21, v18, v19
	v_add_f32_e32 v14, v14, v19
	;; [unrolled: 1-line block ×3, first 2 shown]
	v_mul_f32_e32 v21, 0xc1000000, v21
	v_fma_f32 v17, |v4|, v17, v21
	v_sub_f32_e32 v17, v17, v19
	v_add_f32_e32 v17, v31, v17
	v_add_f32_e32 v17, v14, v17
	;; [unrolled: 1-line block ×3, first 2 shown]
	v_mul_f32_e32 v17, s46, v17
	v_cmp_le_f32_e64 s3, |v14|, v17
	v_mul_f32_e32 v17, v20, v20
	s_or_b32 s3, s9, s3
	s_mov_b32 s9, s2
	s_and_b32 s3, exec_lo, s3
	s_or_b32 s8, s3, s8
	s_andn2_b32 exec_lo, exec_lo, s8
	s_cbranch_execz .LBB8_234
.LBB8_218:                              ;   Parent Loop BB8_4 Depth=1
                                        ;     Parent Loop BB8_44 Depth=2
                                        ; =>    This Loop Header: Depth=3
                                        ;         Child Loop BB8_232 Depth 4
	global_load_dword v19, v[11:12], off offset:-8
	s_waitcnt vmcnt(0)
	v_mul_f32_e32 v21, v13, v19
	v_fma_f32 v20, -v16, v19, v14
	v_add_f32_e32 v16, v17, v16
	v_add_f32_e32 v19, v13, v19
	v_mul_f32_e32 v18, v14, v21
	v_fma_f32 v20, -v13, v17, v20
	v_mul_f32_e32 v17, v16, v21
	v_mul_f32_e32 v21, -4.0, v18
	v_fma_f32 v19, v14, v19, -v17
	v_mul_f32_e32 v17, v21, v20
	v_fmac_f32_e32 v17, v19, v19
	v_mul_f32_e64 v21, 0x4f800000, |v17|
	v_cmp_gt_f32_e64 vcc_lo, 0xf800000, |v17|
	v_cndmask_b32_e64 v17, |v17|, v21, vcc_lo
	v_sqrt_f32_e32 v21, v17
	v_add_nc_u32_e32 v22, -1, v21
	v_add_nc_u32_e32 v23, 1, v21
	v_fma_f32 v33, -v22, v21, v17
	v_fma_f32 v34, -v23, v21, v17
	v_cmp_ge_f32_e64 s2, 0, v33
	v_cndmask_b32_e64 v21, v21, v22, s2
	v_cmp_lt_f32_e64 s2, 0, v34
	v_cndmask_b32_e64 v21, v21, v23, s2
	s_mov_b32 s2, exec_lo
	v_mul_f32_e32 v22, 0x37800000, v21
	v_cndmask_b32_e32 v21, v21, v22, vcc_lo
	v_cmp_class_f32_e64 vcc_lo, v17, 0x260
	v_cndmask_b32_e32 v21, v21, v17, vcc_lo
                                        ; implicit-def: $vgpr17
	v_cmpx_le_f32_e32 0, v19
	s_xor_b32 s2, exec_lo, s2
	s_cbranch_execz .LBB8_220
; %bb.219:                              ;   in Loop: Header=BB8_218 Depth=3
	v_add_f32_e32 v17, v19, v21
	v_add_f32_e32 v18, v20, v20
	v_div_scale_f32 v19, null, v18, v18, v17
	v_rcp_f32_e32 v20, v19
	v_fma_f32 v21, -v19, v20, 1.0
	v_fmac_f32_e32 v20, v21, v20
	v_div_scale_f32 v21, vcc_lo, v17, v18, v17
	v_mul_f32_e32 v22, v21, v20
	v_fma_f32 v23, -v19, v22, v21
	v_fmac_f32_e32 v22, v23, v20
	v_fma_f32 v19, -v19, v22, v21
                                        ; implicit-def: $vgpr21
	v_div_fmas_f32 v19, v19, v20, v22
	v_div_fixup_f32 v17, v19, v18, v17
                                        ; implicit-def: $vgpr18
                                        ; implicit-def: $vgpr19
.LBB8_220:                              ;   in Loop: Header=BB8_218 Depth=3
	s_andn2_saveexec_b32 s2, s2
	s_cbranch_execz .LBB8_222
; %bb.221:                              ;   in Loop: Header=BB8_218 Depth=3
	v_add_f32_e32 v17, v18, v18
	v_sub_f32_e32 v18, v19, v21
	v_div_scale_f32 v19, null, v18, v18, v17
	v_rcp_f32_e32 v20, v19
	v_fma_f32 v21, -v19, v20, 1.0
	v_fmac_f32_e32 v20, v21, v20
	v_div_scale_f32 v21, vcc_lo, v17, v18, v17
	v_mul_f32_e32 v22, v21, v20
	v_fma_f32 v23, -v19, v22, v21
	v_fmac_f32_e32 v22, v23, v20
	v_fma_f32 v19, -v19, v22, v21
	v_div_fmas_f32 v19, v19, v20, v22
	v_div_fixup_f32 v17, v19, v18, v17
.LBB8_222:                              ;   in Loop: Header=BB8_218 Depth=3
	s_or_b32 exec_lo, exec_lo, s2
	v_mul_f32_e32 v18, v14, v17
	s_mov_b32 s2, exec_lo
	v_cmpx_lt_f32_e32 0, v18
	s_cbranch_execz .LBB8_224
; %bb.223:                              ;   in Loop: Header=BB8_218 Depth=3
	v_div_scale_f32 v17, null, v16, v16, -v14
	v_rcp_f32_e32 v18, v17
	v_fma_f32 v19, -v17, v18, 1.0
	v_fmac_f32_e32 v18, v19, v18
	v_div_scale_f32 v19, vcc_lo, -v14, v16, -v14
	v_mul_f32_e32 v20, v19, v18
	v_fma_f32 v21, -v17, v20, v19
	v_fmac_f32_e32 v20, v21, v18
	v_fma_f32 v17, -v17, v20, v19
	v_div_fmas_f32 v17, v17, v18, v20
	v_div_fixup_f32 v17, v17, v16, -v14
.LBB8_224:                              ;   in Loop: Header=BB8_218 Depth=3
	s_or_b32 exec_lo, exec_lo, s2
	v_cmp_lt_f32_e32 vcc_lo, 0, v14
	v_cmp_lt_f32_e64 s2, v4, v9
	v_cmp_lt_f32_e64 s3, v15, v4
	v_add_f32_e32 v18, v4, v17
	s_and_b32 vcc_lo, vcc_lo, s2
	v_cndmask_b32_e64 v16, v15, v4, s3
	v_cndmask_b32_e32 v9, v9, v4, vcc_lo
	v_cmp_nge_f32_e32 vcc_lo, 0, v14
	v_cndmask_b32_e32 v15, v16, v15, vcc_lo
	v_cmp_gt_f32_e32 vcc_lo, v18, v9
	v_cmp_lt_f32_e64 s2, v18, v15
	s_or_b32 s3, vcc_lo, s2
	s_and_saveexec_b32 s2, s3
	s_cbranch_execz .LBB8_230
; %bb.225:                              ;   in Loop: Header=BB8_218 Depth=3
	s_mov_b32 s3, exec_lo
                                        ; implicit-def: $vgpr17
	v_cmpx_ngt_f32_e32 0, v14
	s_xor_b32 s3, exec_lo, s3
; %bb.226:                              ;   in Loop: Header=BB8_218 Depth=3
	v_sub_f32_e32 v14, v15, v4
	v_mul_f32_e32 v17, 0.5, v14
; %bb.227:                              ;   in Loop: Header=BB8_218 Depth=3
	s_andn2_saveexec_b32 s3, s3
; %bb.228:                              ;   in Loop: Header=BB8_218 Depth=3
	v_sub_f32_e32 v14, v9, v4
	v_mul_f32_e32 v17, 0.5, v14
; %bb.229:                              ;   in Loop: Header=BB8_218 Depth=3
	s_or_b32 exec_lo, exec_lo, s3
.LBB8_230:                              ;   in Loop: Header=BB8_218 Depth=3
	s_or_b32 exec_lo, exec_lo, s2
	v_mov_b32_e32 v16, 0
	v_mov_b32_e32 v14, 0
	v_mov_b32_e32 v18, 0
	s_andn2_b32 vcc_lo, exec_lo, s89
	s_cbranch_vccnz .LBB8_217
; %bb.231:                              ;   in Loop: Header=BB8_218 Depth=3
	v_mov_b32_e32 v14, v8
	v_mov_b32_e32 v16, 0
	;; [unrolled: 1-line block ×5, first 2 shown]
	s_mov_b64 s[2:3], s[30:31]
	s_mov_b32 s21, s36
	s_inst_prefetch 0x1
	.p2align	6
.LBB8_232:                              ;   Parent Loop BB8_4 Depth=1
                                        ;     Parent Loop BB8_44 Depth=2
                                        ;       Parent Loop BB8_218 Depth=3
                                        ; =>      This Inner Loop Header: Depth=4
	global_load_dword v20, v[13:14], off
	s_add_i32 s21, s21, -1
	s_waitcnt vmcnt(0)
	v_sub_f32_e32 v20, v20, v17
	global_store_dword v[13:14], v20, off
	global_load_dword v21, v2, s[2:3]
	s_add_u32 s2, s2, 4
	s_addc_u32 s3, s3, 0
	s_cmp_eq_u32 s21, 0
	s_waitcnt vmcnt(0)
	v_div_scale_f32 v22, null, v20, v20, v21
	v_div_scale_f32 v34, vcc_lo, v21, v20, v21
	v_rcp_f32_e32 v23, v22
	v_fma_f32 v33, -v22, v23, 1.0
	v_fmac_f32_e32 v23, v33, v23
	v_mul_f32_e32 v33, v34, v23
	v_fma_f32 v35, -v22, v33, v34
	v_fmac_f32_e32 v33, v35, v23
	v_fma_f32 v22, -v22, v33, v34
	v_div_fmas_f32 v22, v22, v23, v33
	v_add_co_u32 v13, vcc_lo, v13, 4
	v_add_co_ci_u32_e64 v14, null, 0, v14, vcc_lo
	v_div_fixup_f32 v20, v22, v20, v21
	v_fmac_f32_e32 v18, v21, v20
	v_fmac_f32_e32 v16, v20, v20
	v_add_f32_e32 v19, v19, v18
	s_cbranch_scc0 .LBB8_232
; %bb.233:                              ;   in Loop: Header=BB8_218 Depth=3
	s_inst_prefetch 0x2
	global_load_dword v13, v[11:12], off offset:-4
	v_and_b32_e32 v14, 0x7fffffff, v19
	s_branch .LBB8_217
.LBB8_234:                              ;   in Loop: Header=BB8_44 Depth=2
	s_or_b32 exec_lo, exec_lo, s8
.LBB8_235:                              ;   in Loop: Header=BB8_44 Depth=2
	s_or_b32 exec_lo, exec_lo, s4
.LBB8_236:                              ;   in Loop: Header=BB8_44 Depth=2
	s_or_b32 exec_lo, exec_lo, s7
	v_add_f32_e32 v34, v10, v4
	s_or_b32 exec_lo, exec_lo, s5
	global_store_dword v[5:6], v34, off
	s_and_b32 exec_lo, exec_lo, s1
	s_cbranch_execz .LBB8_43
.LBB8_237:                              ;   in Loop: Header=BB8_44 Depth=2
	v_xor_b32_e32 v4, 0x80000000, v34
	global_store_dword v[5:6], v4, off
	s_branch .LBB8_43
.LBB8_238:                              ;   in Loop: Header=BB8_4 Depth=1
	s_or_b32 exec_lo, exec_lo, s81
	s_waitcnt_vscnt null, 0x0
	s_barrier
	buffer_gl0_inv
	s_and_saveexec_b32 s7, s0
	s_cbranch_execz .LBB8_2
; %bb.239:                              ;   in Loop: Header=BB8_4 Depth=1
	v_readlane_b32 s0, v52, 0
	s_add_u32 s2, s47, s34
	s_addc_u32 s3, s48, s35
	v_mov_b32_e32 v1, v0
	s_add_u32 s19, s0, s34
	s_addc_u32 s28, s56, s35
	s_add_u32 s4, s70, s34
	s_addc_u32 s5, s71, s35
	s_mov_b32 s34, 0
	s_branch .LBB8_242
.LBB8_240:                              ;   in Loop: Header=BB8_242 Depth=2
	v_mul_f32_e64 v5, 0x4f800000, |v10|
	v_cmp_gt_f32_e64 vcc_lo, 0xf800000, |v10|
	v_cndmask_b32_e64 v5, |v10|, v5, vcc_lo
	v_sqrt_f32_e32 v6, v5
	v_add_nc_u32_e32 v7, -1, v6
	v_add_nc_u32_e32 v8, 1, v6
	v_fma_f32 v9, -v7, v6, v5
	v_fma_f32 v10, -v8, v6, v5
	v_cmp_ge_f32_e64 s0, 0, v9
	v_cndmask_b32_e64 v6, v6, v7, s0
	v_cmp_lt_f32_e64 s0, 0, v10
	v_cndmask_b32_e64 v6, v6, v8, s0
	v_mul_f32_e32 v7, 0x37800000, v6
	v_cndmask_b32_e32 v6, v6, v7, vcc_lo
	v_cmp_class_f32_e64 vcc_lo, v5, 0x260
	v_cndmask_b32_e32 v5, v6, v5, vcc_lo
.LBB8_241:                              ;   in Loop: Header=BB8_242 Depth=2
	v_add_co_u32 v3, vcc_lo, s30, v3
	v_add_co_ci_u32_e64 v4, null, s31, v4, vcc_lo
	v_add_nc_u32_e32 v1, s11, v1
	global_load_dword v6, v[3:4], off
	v_cmp_le_u32_e32 vcc_lo, s18, v1
	s_or_b32 s34, vcc_lo, s34
	s_waitcnt vmcnt(0)
	v_cmp_gt_f32_e64 s0, 0, v6
	v_cndmask_b32_e64 v5, v5, -v5, s0
	global_store_dword v[3:4], v5, off
	s_andn2_b32 exec_lo, exec_lo, s34
	s_cbranch_execz .LBB8_2
.LBB8_242:                              ;   Parent Loop BB8_4 Depth=1
                                        ; =>  This Loop Header: Depth=2
                                        ;       Child Loop BB8_246 Depth 3
	v_lshlrev_b64 v[3:4], 2, v[1:2]
	s_andn2_b32 vcc_lo, exec_lo, s78
	s_cbranch_vccnz .LBB8_249
; %bb.243:                              ;   in Loop: Header=BB8_242 Depth=2
	v_add_co_u32 v5, vcc_lo, s19, v3
	v_add_co_ci_u32_e64 v6, null, s28, v4, vcc_lo
	v_mov_b32_e32 v10, 1.0
	v_mov_b32_e32 v7, v1
	s_mov_b32 s35, 0
	s_mov_b64 s[0:1], s[2:3]
	s_mov_b64 s[8:9], s[4:5]
	s_branch .LBB8_246
.LBB8_244:                              ;   in Loop: Header=BB8_246 Depth=3
	s_or_b32 exec_lo, exec_lo, s21
	s_waitcnt vmcnt(0)
	v_mul_f32_e32 v10, v10, v11
.LBB8_245:                              ;   in Loop: Header=BB8_246 Depth=3
	s_add_i32 s35, s35, 1
	s_add_u32 s8, s8, 4
	v_add_nc_u32_e32 v7, s22, v7
	s_addc_u32 s9, s9, 0
	s_add_u32 s0, s0, 4
	s_addc_u32 s1, s1, 0
	s_cmp_eq_u32 s77, s35
	s_cbranch_scc1 .LBB8_240
.LBB8_246:                              ;   Parent Loop BB8_4 Depth=1
                                        ;     Parent Loop BB8_242 Depth=2
                                        ; =>    This Inner Loop Header: Depth=3
	global_load_dword v8, v2, s[8:9]
	s_waitcnt vmcnt(0)
	v_cmp_ne_u32_e32 vcc_lo, 1, v8
	s_cbranch_vccnz .LBB8_245
; %bb.247:                              ;   in Loop: Header=BB8_246 Depth=3
	v_ashrrev_i32_e32 v8, 31, v7
	s_mov_b32 s21, exec_lo
	v_lshlrev_b64 v[8:9], 2, v[7:8]
	v_add_co_u32 v11, vcc_lo, s79, v8
	v_add_co_ci_u32_e64 v12, null, s80, v9, vcc_lo
	global_load_dword v8, v[5:6], off offset:8
	global_load_dword v11, v[11:12], off
	s_waitcnt vmcnt(1)
	v_cmpx_ne_u32_e64 s35, v8
	s_cbranch_execz .LBB8_244
; %bb.248:                              ;   in Loop: Header=BB8_246 Depth=3
	v_ashrrev_i32_e32 v9, 31, v8
	v_lshlrev_b64 v[8:9], 2, v[8:9]
	v_add_co_u32 v8, vcc_lo, s2, v8
	v_add_co_ci_u32_e64 v9, null, s3, v9, vcc_lo
	global_load_dword v12, v2, s[0:1]
	global_load_dword v8, v[8:9], off
	s_waitcnt vmcnt(0)
	v_sub_f32_e32 v8, v8, v12
	v_div_scale_f32 v9, null, v8, v8, v11
	v_rcp_f32_e32 v12, v9
	v_fma_f32 v13, -v9, v12, 1.0
	v_fmac_f32_e32 v12, v13, v12
	v_div_scale_f32 v13, vcc_lo, v11, v8, v11
	v_mul_f32_e32 v14, v13, v12
	v_fma_f32 v15, -v9, v14, v13
	v_fmac_f32_e32 v14, v15, v12
	v_fma_f32 v9, -v9, v14, v13
	v_div_fmas_f32 v9, v9, v12, v14
	v_div_fixup_f32 v11, v9, v8, v11
	s_branch .LBB8_244
.LBB8_249:                              ;   in Loop: Header=BB8_242 Depth=2
	v_mov_b32_e32 v5, 1.0
	s_branch .LBB8_241
.LBB8_250:
	s_endpgm
	.section	.rodata,"a",@progbits
	.p2align	6, 0x0
	.amdhsa_kernel _ZN9rocsolver6v33100L25stedcx_mergeValues_kernelIfEEviiPT_lS3_lS3_S3_PiS2_S2_S2_
		.amdhsa_group_segment_fixed_size 0
		.amdhsa_private_segment_fixed_size 0
		.amdhsa_kernarg_size 336
		.amdhsa_user_sgpr_count 6
		.amdhsa_user_sgpr_private_segment_buffer 1
		.amdhsa_user_sgpr_dispatch_ptr 0
		.amdhsa_user_sgpr_queue_ptr 0
		.amdhsa_user_sgpr_kernarg_segment_ptr 1
		.amdhsa_user_sgpr_dispatch_id 0
		.amdhsa_user_sgpr_flat_scratch_init 0
		.amdhsa_user_sgpr_private_segment_size 0
		.amdhsa_wavefront_size32 1
		.amdhsa_uses_dynamic_stack 0
		.amdhsa_system_sgpr_private_segment_wavefront_offset 0
		.amdhsa_system_sgpr_workgroup_id_x 1
		.amdhsa_system_sgpr_workgroup_id_y 1
		.amdhsa_system_sgpr_workgroup_id_z 1
		.amdhsa_system_sgpr_workgroup_info 0
		.amdhsa_system_vgpr_workitem_id 0
		.amdhsa_next_free_vgpr 53
		.amdhsa_next_free_sgpr 105
		.amdhsa_reserve_vcc 1
		.amdhsa_reserve_flat_scratch 0
		.amdhsa_float_round_mode_32 0
		.amdhsa_float_round_mode_16_64 0
		.amdhsa_float_denorm_mode_32 3
		.amdhsa_float_denorm_mode_16_64 3
		.amdhsa_dx10_clamp 1
		.amdhsa_ieee_mode 1
		.amdhsa_fp16_overflow 0
		.amdhsa_workgroup_processor_mode 1
		.amdhsa_memory_ordered 1
		.amdhsa_forward_progress 1
		.amdhsa_shared_vgpr_count 0
		.amdhsa_exception_fp_ieee_invalid_op 0
		.amdhsa_exception_fp_denorm_src 0
		.amdhsa_exception_fp_ieee_div_zero 0
		.amdhsa_exception_fp_ieee_overflow 0
		.amdhsa_exception_fp_ieee_underflow 0
		.amdhsa_exception_fp_ieee_inexact 0
		.amdhsa_exception_int_div_zero 0
	.end_amdhsa_kernel
	.section	.text._ZN9rocsolver6v33100L25stedcx_mergeValues_kernelIfEEviiPT_lS3_lS3_S3_PiS2_S2_S2_,"axG",@progbits,_ZN9rocsolver6v33100L25stedcx_mergeValues_kernelIfEEviiPT_lS3_lS3_S3_PiS2_S2_S2_,comdat
.Lfunc_end8:
	.size	_ZN9rocsolver6v33100L25stedcx_mergeValues_kernelIfEEviiPT_lS3_lS3_S3_PiS2_S2_S2_, .Lfunc_end8-_ZN9rocsolver6v33100L25stedcx_mergeValues_kernelIfEEviiPT_lS3_lS3_S3_PiS2_S2_S2_
                                        ; -- End function
	.set _ZN9rocsolver6v33100L25stedcx_mergeValues_kernelIfEEviiPT_lS3_lS3_S3_PiS2_S2_S2_.num_vgpr, 53
	.set _ZN9rocsolver6v33100L25stedcx_mergeValues_kernelIfEEviiPT_lS3_lS3_S3_PiS2_S2_S2_.num_agpr, 0
	.set _ZN9rocsolver6v33100L25stedcx_mergeValues_kernelIfEEviiPT_lS3_lS3_S3_PiS2_S2_S2_.numbered_sgpr, 105
	.set _ZN9rocsolver6v33100L25stedcx_mergeValues_kernelIfEEviiPT_lS3_lS3_S3_PiS2_S2_S2_.num_named_barrier, 0
	.set _ZN9rocsolver6v33100L25stedcx_mergeValues_kernelIfEEviiPT_lS3_lS3_S3_PiS2_S2_S2_.private_seg_size, 0
	.set _ZN9rocsolver6v33100L25stedcx_mergeValues_kernelIfEEviiPT_lS3_lS3_S3_PiS2_S2_S2_.uses_vcc, 1
	.set _ZN9rocsolver6v33100L25stedcx_mergeValues_kernelIfEEviiPT_lS3_lS3_S3_PiS2_S2_S2_.uses_flat_scratch, 0
	.set _ZN9rocsolver6v33100L25stedcx_mergeValues_kernelIfEEviiPT_lS3_lS3_S3_PiS2_S2_S2_.has_dyn_sized_stack, 0
	.set _ZN9rocsolver6v33100L25stedcx_mergeValues_kernelIfEEviiPT_lS3_lS3_S3_PiS2_S2_S2_.has_recursion, 0
	.set _ZN9rocsolver6v33100L25stedcx_mergeValues_kernelIfEEviiPT_lS3_lS3_S3_PiS2_S2_S2_.has_indirect_call, 0
	.section	.AMDGPU.csdata,"",@progbits
; Kernel info:
; codeLenInByte = 13880
; TotalNumSgprs: 107
; NumVgprs: 53
; ScratchSize: 0
; MemoryBound: 0
; FloatMode: 240
; IeeeMode: 1
; LDSByteSize: 0 bytes/workgroup (compile time only)
; SGPRBlocks: 0
; VGPRBlocks: 6
; NumSGPRsForWavesPerEU: 107
; NumVGPRsForWavesPerEU: 53
; Occupancy: 16
; WaveLimiterHint : 1
; COMPUTE_PGM_RSRC2:SCRATCH_EN: 0
; COMPUTE_PGM_RSRC2:USER_SGPR: 6
; COMPUTE_PGM_RSRC2:TRAP_HANDLER: 0
; COMPUTE_PGM_RSRC2:TGID_X_EN: 1
; COMPUTE_PGM_RSRC2:TGID_Y_EN: 1
; COMPUTE_PGM_RSRC2:TGID_Z_EN: 1
; COMPUTE_PGM_RSRC2:TIDIG_COMP_CNT: 0
	.section	.text._ZN9rocsolver6v33100L26stedcx_mergeVectors_kernelILb0EfEEviiPT0_lS3_lS3_iilS3_S3_Pi,"axG",@progbits,_ZN9rocsolver6v33100L26stedcx_mergeVectors_kernelILb0EfEEviiPT0_lS3_lS3_iilS3_S3_Pi,comdat
	.globl	_ZN9rocsolver6v33100L26stedcx_mergeVectors_kernelILb0EfEEviiPT0_lS3_lS3_iilS3_S3_Pi ; -- Begin function _ZN9rocsolver6v33100L26stedcx_mergeVectors_kernelILb0EfEEviiPT0_lS3_lS3_iilS3_S3_Pi
	.p2align	8
	.type	_ZN9rocsolver6v33100L26stedcx_mergeVectors_kernelILb0EfEEviiPT0_lS3_lS3_iilS3_S3_Pi,@function
_ZN9rocsolver6v33100L26stedcx_mergeVectors_kernelILb0EfEEviiPT0_lS3_lS3_iilS3_S3_Pi: ; @_ZN9rocsolver6v33100L26stedcx_mergeVectors_kernelILb0EfEEviiPT0_lS3_lS3_iilS3_S3_Pi
; %bb.0:
	s_clause 0x1
	s_load_dwordx4 s[0:3], s[4:5], 0x28
	s_load_dwordx8 s[12:19], s[4:5], 0x38
	s_mov_b32 s10, s7
	s_waitcnt lgkmcnt(0)
	s_cmp_eq_u64 s[0:1], 0
	s_cbranch_scc1 .LBB9_2
; %bb.1:
	s_ashr_i32 s7, s8, 31
	s_mul_hi_u32 s9, s12, s8
	s_mul_i32 s7, s12, s7
	s_mul_i32 s11, s13, s8
	s_add_i32 s7, s9, s7
	s_mul_i32 s12, s12, s8
	s_add_i32 s13, s7, s11
	s_ashr_i32 s21, s2, 31
	s_lshl_b64 s[12:13], s[12:13], 2
	s_mov_b32 s20, s2
	s_add_u32 s2, s0, s12
	s_addc_u32 s7, s1, s13
	s_lshl_b64 s[0:1], s[20:21], 2
	s_add_u32 s12, s2, s0
	s_addc_u32 s13, s7, s1
	s_branch .LBB9_3
.LBB9_2:
                                        ; implicit-def: $sgpr12_sgpr13
.LBB9_3:
	s_load_dwordx2 s[20:21], s[4:5], 0x0
	s_waitcnt lgkmcnt(0)
	s_mul_i32 s0, s21, 5
	s_mov_b32 s26, s21
	s_add_i32 s0, s0, 2
	s_mul_i32 s0, s0, s8
	s_ashr_i32 s1, s0, 31
	s_lshl_b64 s[24:25], s[0:1], 2
	s_add_u32 s7, s18, s24
	s_addc_u32 s30, s19, s25
	s_ashr_i32 s27, s21, 31
	s_lshl_b64 s[0:1], s[26:27], 2
	s_add_u32 s22, s7, s0
	s_addc_u32 s23, s30, s1
	s_load_dword s31, s[22:23], 0x4
	s_waitcnt lgkmcnt(0)
	s_cmp_ge_i32 s10, s31
	s_cbranch_scc1 .LBB9_47
; %bb.4:
	s_load_dword s2, s[4:5], 0x64
	s_add_u32 s33, s22, s0
	s_addc_u32 s34, s23, s1
	s_add_u32 s35, s33, s0
	s_mul_i32 s4, s21, s21
	s_addc_u32 s36, s34, s1
	s_lshl_b32 s11, s8, 1
	s_mul_i32 s47, s26, 12
	s_mul_i32 s8, s11, s4
	;; [unrolled: 1-line block ×3, first 2 shown]
	s_ashr_i32 s9, s8, 31
	s_ashr_i32 s29, s28, 31
	s_lshl_b64 s[8:9], s[8:9], 2
	s_mov_b32 s5, 0
	s_add_u32 s37, s16, s8
	s_addc_u32 s38, s17, s9
	s_lshl_b32 s39, 2, s20
	s_not_b32 s41, s20
	v_cvt_f32_u32_e32 v3, s39
	v_lshlrev_b32_e32 v5, 2, v0
	s_waitcnt lgkmcnt(0)
	s_and_b32 s40, 0xffff, s2
	v_mov_b32_e32 v2, 0
	s_cmp_gt_u32 s40, 1
	v_rcp_iflag_f32_e32 v6, v3
	s_cselect_b32 s42, -1, 0
	s_ashr_i32 s43, s6, 31
	s_abs_i32 s44, s6
	s_add_u32 s0, s0, s24
	s_addc_u32 s1, s1, s25
	s_add_u32 s0, s18, s0
	s_addc_u32 s1, s19, s1
	;; [unrolled: 2-line block ×3, first 2 shown]
	s_mul_hi_i32 s0, s26, 12
	s_add_u32 s1, s47, s24
	s_addc_u32 s0, s0, s25
	s_add_u32 s1, s18, s1
	s_addc_u32 s0, s19, s0
	;; [unrolled: 2-line block ×3, first 2 shown]
	s_lshl_b64 s[4:5], s[4:5], 2
	v_add_nc_u32_e32 v1, 0, v5
	s_add_u32 s1, s8, s4
	s_addc_u32 s2, s9, s5
	s_add_u32 s49, s16, s1
	s_addc_u32 s50, s17, s2
	s_lshl_b64 s[4:5], s[28:29], 2
	s_lshl_b32 s51, s40, 2
	s_add_u32 s1, s14, s4
	s_addc_u32 s2, s15, s5
	s_lshl_b64 s[4:5], s[26:27], 4
	v_add_co_u32 v3, s1, s1, v5
	v_add_co_ci_u32_e64 v4, null, s2, 0, s1
	s_add_u32 s1, s4, s24
	s_addc_u32 s2, s5, s25
	s_add_u32 s1, s18, s1
	s_addc_u32 s2, s19, s2
	v_add_co_u32 v5, s1, s1, v5
	v_add_co_ci_u32_e64 v7, null, s2, 0, s1
	v_mul_f32_e32 v8, 0x4f7ffffe, v6
	v_add_co_u32 v5, vcc_lo, v5, 8
	v_cmp_eq_u32_e64 s0, 0, v0
	v_add_co_ci_u32_e64 v6, null, 0, v7, vcc_lo
	v_cvt_u32_f32_e32 v7, v8
	s_sub_i32 s52, 0, s39
                                        ; implicit-def: $vgpr8
	s_branch .LBB9_6
.LBB9_5:                                ;   in Loop: Header=BB9_6 Depth=1
	s_add_i32 s10, s10, 8
	s_cmp_ge_i32 s10, s31
	s_cbranch_scc1 .LBB9_47
.LBB9_6:                                ; =>This Loop Header: Depth=1
                                        ;     Child Loop BB9_14 Depth 2
                                        ;     Child Loop BB9_17 Depth 2
	;; [unrolled: 1-line block ×6, first 2 shown]
                                        ;       Child Loop BB9_35 Depth 3
                                        ;       Child Loop BB9_38 Depth 3
	s_ashr_i32 s11, s10, 31
	s_lshl_b64 s[4:5], s[10:11], 2
	s_barrier
	s_add_u32 s4, s7, s4
	s_addc_u32 s5, s30, s5
	buffer_gl0_inv
	s_load_dwordx2 s[4:5], s[4:5], 0x0
	s_mov_b32 s2, 0
	s_waitcnt lgkmcnt(0)
	s_sub_i32 s1, s5, s4
	s_cmp_lt_i32 s1, 3
	s_cbranch_scc1 .LBB9_11
; %bb.7:                                ;   in Loop: Header=BB9_6 Depth=1
	s_cmp_lt_u32 s1, 5
	s_mov_b32 s2, 1
	s_cbranch_scc1 .LBB9_11
; %bb.8:                                ;   in Loop: Header=BB9_6 Depth=1
	s_cmp_lt_u32 s1, 33
	s_mov_b32 s2, 2
	s_cbranch_scc1 .LBB9_11
; %bb.9:                                ;   in Loop: Header=BB9_6 Depth=1
	s_cmpk_lt_u32 s1, 0xe9
	s_mov_b32 s2, 4
	s_cbranch_scc1 .LBB9_11
; %bb.10:                               ;   in Loop: Header=BB9_6 Depth=1
	s_cmpk_lt_u32 s1, 0x128
	s_cselect_b32 s2, 5, 7
	s_cmpk_lt_u32 s1, 0x79b
	s_cselect_b32 s2, s2, 8
.LBB9_11:                               ;   in Loop: Header=BB9_6 Depth=1
	s_lshl_b32 s5, 1, s2
	s_add_i32 s1, s1, -1
	v_cvt_f32_u32_e32 v9, s5
	s_sub_i32 s9, 0, s5
	s_ashr_i32 s53, s1, 31
	s_add_i32 s1, s1, s53
	v_rcp_iflag_f32_e32 v9, v9
	s_xor_b32 s54, s1, s53
	v_mul_f32_e32 v9, 0x4f7ffffe, v9
	v_cvt_u32_f32_e32 v9, v9
	v_readfirstlane_b32 s8, v9
	s_mul_i32 s9, s9, s8
	s_mul_hi_u32 s9, s8, s9
	s_add_i32 s8, s8, s9
	s_mul_hi_u32 s1, s54, s8
	s_mul_i32 s8, s1, s5
	s_add_i32 s9, s1, 1
	s_sub_i32 s8, s54, s8
	s_sub_i32 s11, s8, s5
	s_cmp_ge_u32 s8, s5
	s_cselect_b32 s1, s9, s1
	s_cselect_b32 s8, s11, s8
	s_add_i32 s9, s1, 1
	s_cmp_ge_u32 s8, s5
	s_cselect_b32 s1, s9, s1
	s_xor_b32 s1, s1, s53
	s_sub_i32 s1, s1, s53
	s_add_i32 s1, s1, 1
	s_lshl_b32 s5, s1, s2
	s_cmp_ge_i32 s6, s5
	s_cselect_b32 s5, -1, 0
	s_cmp_ge_i32 s20, s2
	s_cselect_b32 s8, -1, 0
	s_or_b32 s5, s8, s5
	s_and_b32 vcc_lo, exec_lo, s5
	s_cbranch_vccnz .LBB9_5
; %bb.12:                               ;   in Loop: Header=BB9_6 Depth=1
	s_ashr_i32 s5, s4, 31
	s_lshl_b64 s[16:17], s[4:5], 2
	s_add_u32 s11, s22, s16
	s_addc_u32 s25, s23, s17
	s_add_u32 s26, s33, s16
	s_addc_u32 s27, s34, s17
	s_abs_i32 s4, s1
	v_cvt_f32_u32_e32 v9, s4
	s_sub_i32 s8, 0, s4
	v_rcp_iflag_f32_e32 v9, v9
	v_mul_f32_e32 v9, 0x4f7ffffe, v9
	v_cvt_u32_f32_e32 v9, v9
	v_readfirstlane_b32 s5, v9
	s_mul_i32 s8, s8, s5
	s_mul_hi_u32 s8, s5, s8
	s_add_i32 s5, s5, s8
	s_ashr_i32 s8, s1, 31
	s_mul_hi_u32 s5, s44, s5
	s_xor_b32 s8, s43, s8
	s_mul_i32 s9, s5, s4
	s_add_i32 s14, s5, 1
	s_sub_i32 s9, s44, s9
	s_sub_i32 s15, s9, s4
	s_cmp_ge_u32 s9, s4
	s_cselect_b32 s5, s14, s5
	s_cselect_b32 s9, s15, s9
	s_add_i32 s14, s5, 1
	s_cmp_ge_u32 s9, s4
	s_cselect_b32 s4, s14, s5
	v_readfirstlane_b32 s14, v7
	s_xor_b32 s4, s4, s8
	s_sub_i32 s8, s4, s8
	s_ashr_i32 s9, s8, 31
	s_mul_i32 s15, s52, s14
	s_lshl_b64 s[18:19], s[8:9], 2
	s_mul_hi_u32 s15, s14, s15
	s_add_u32 s4, s26, s18
	s_addc_u32 s5, s27, s19
	s_add_i32 s24, s8, s9
	s_add_i32 s14, s14, s15
	s_xor_b32 s24, s24, s9
	s_mul_hi_u32 s14, s24, s14
	s_mul_i32 s14, s14, s39
	s_sub_i32 s14, s24, s14
	s_sub_i32 s15, s14, s39
	s_cmp_ge_u32 s14, s39
	s_cselect_b32 s14, s15, s14
	s_sub_i32 s15, s14, s39
	s_cmp_ge_u32 s14, s39
	s_cselect_b32 s14, s15, s14
	s_xor_b32 s14, s14, s9
	s_sub_i32 s24, s14, s9
	s_sub_i32 s14, s8, s24
	s_ashr_i32 s15, s14, 31
	s_lshl_b64 s[14:15], s[14:15], 2
	s_add_u32 s26, s26, s14
	s_addc_u32 s27, s27, s15
	s_add_u32 s14, s11, s18
	s_addc_u32 s15, s25, s19
	s_cmp_lt_i32 s24, 1
	s_load_dword s11, s[14:15], 0x8
	s_cbranch_scc1 .LBB9_15
; %bb.13:                               ;   in Loop: Header=BB9_6 Depth=1
	s_add_i32 s9, s24, 1
	s_add_u32 s55, s16, s18
	s_addc_u32 s56, s17, s19
	s_ashr_i32 s25, s24, 31
	s_lshl_b64 s[28:29], s[24:25], 2
	s_sub_u32 s25, s55, s28
	s_subb_u32 s29, s56, s29
	s_add_u32 s28, s45, s25
	s_addc_u32 s29, s46, s29
.LBB9_14:                               ;   Parent Loop BB9_6 Depth=1
                                        ; =>  This Inner Loop Header: Depth=2
	s_load_dword s25, s[28:29], 0x0
	s_add_i32 s9, s9, -1
	s_waitcnt lgkmcnt(0)
	s_add_i32 s11, s25, s11
	s_add_u32 s28, s28, 4
	s_addc_u32 s29, s29, 0
	s_cmp_lt_u32 s9, 2
	s_cbranch_scc0 .LBB9_14
.LBB9_15:                               ;   in Loop: Header=BB9_6 Depth=1
	s_clause 0x1
	s_load_dword s9, s[4:5], 0x8
	s_load_dword s4, s[26:27], 0x8
	s_not_b32 s5, s24
	s_add_i32 s26, s39, s5
	s_cmp_lt_i32 s26, 1
	s_cbranch_scc1 .LBB9_18
; %bb.16:                               ;   in Loop: Header=BB9_6 Depth=1
	s_ashr_i32 s27, s26, 31
	s_lshl_b64 s[26:27], s[26:27], 2
	s_add_u32 s5, s16, s26
	s_addc_u32 s16, s17, s27
	s_add_u32 s5, s5, s18
	s_addc_u32 s17, s16, s19
	;; [unrolled: 2-line block ×3, first 2 shown]
	s_sub_i32 s5, s39, s24
.LBB9_17:                               ;   Parent Loop BB9_6 Depth=1
                                        ; =>  This Inner Loop Header: Depth=2
	s_load_dword s18, s[16:17], 0x0
	s_waitcnt lgkmcnt(0)
	s_add_i32 s11, s18, s11
	s_add_u32 s16, s16, -4
	s_addc_u32 s17, s17, -1
	s_add_i32 s5, s5, -1
	s_cmp_lt_u32 s5, 2
	s_cbranch_scc0 .LBB9_17
.LBB9_18:                               ;   in Loop: Header=BB9_6 Depth=1
	s_waitcnt lgkmcnt(0)
	s_ashr_i32 s5, s4, 31
	s_cmp_lt_i32 s11, 1
	s_cbranch_scc1 .LBB9_21
; %bb.19:                               ;   in Loop: Header=BB9_6 Depth=1
	s_lshl_b64 s[16:17], s[4:5], 2
	s_mov_b32 s18, 0
	s_add_u32 s16, s47, s16
	s_addc_u32 s17, s48, s17
	s_mov_b32 s19, s11
.LBB9_20:                               ;   Parent Loop BB9_6 Depth=1
                                        ; =>  This Inner Loop Header: Depth=2
	s_load_dword s24, s[16:17], 0x0
	s_waitcnt lgkmcnt(0)
	s_cmp_eq_u32 s24, 1
	s_cselect_b32 s24, -1, 0
	s_cmp_lg_u32 s24, 0
	s_addc_u32 s18, s18, 0
	s_add_i32 s19, s19, -1
	s_add_u32 s16, s16, 4
	s_addc_u32 s17, s17, 0
	s_cmp_eq_u32 s19, 0
	s_cbranch_scc0 .LBB9_20
	s_branch .LBB9_22
.LBB9_21:                               ;   in Loop: Header=BB9_6 Depth=1
	s_mov_b32 s18, 0
.LBB9_22:                               ;   in Loop: Header=BB9_6 Depth=1
	s_barrier
	buffer_gl0_inv
	s_load_dword s14, s[14:15], 0x8
	s_mul_i32 s1, s8, s1
	s_sub_i32 s1, s6, s1
	s_waitcnt lgkmcnt(0)
	s_cmp_lt_i32 s1, s14
	s_cbranch_scc0 .LBB9_5
; %bb.23:                               ;   in Loop: Header=BB9_6 Depth=1
	s_add_i32 s8, s1, s9
	v_cmp_gt_u32_e32 vcc_lo, s18, v0
	s_ashr_i32 s9, s8, 31
	s_lshl_b64 s[14:15], s[8:9], 2
	s_add_u32 s14, s35, s14
	s_addc_u32 s15, s36, s15
	s_load_dword s1, s[14:15], 0x8
	s_waitcnt lgkmcnt(0)
	s_cmp_lg_u32 s1, 1
	s_mov_b32 s1, -1
	s_cbranch_scc1 .LBB9_30
; %bb.24:                               ;   in Loop: Header=BB9_6 Depth=1
	v_mov_b32_e32 v8, 0
	s_and_saveexec_b32 s1, vcc_lo
	s_cbranch_execz .LBB9_28
; %bb.25:                               ;   in Loop: Header=BB9_6 Depth=1
	v_mad_u64_u32 v[9:10], null, s8, s21, v[0:1]
	s_lshl_b64 s[16:17], s[4:5], 2
	v_mov_b32_e32 v8, 0
	v_mov_b32_e32 v13, v0
	s_mov_b32 s9, 0
	v_ashrrev_i32_e32 v10, 31, v9
	v_lshlrev_b64 v[11:12], 2, v[9:10]
	v_add_co_u32 v9, vcc_lo, v3, s16
	v_add_co_ci_u32_e64 v10, null, s17, v4, vcc_lo
	s_mov_b64 s[16:17], 0
	v_add_co_u32 v11, vcc_lo, s49, v11
	v_add_co_ci_u32_e64 v12, null, s50, v12, vcc_lo
	s_inst_prefetch 0x1
	.p2align	6
.LBB9_26:                               ;   Parent Loop BB9_6 Depth=1
                                        ; =>  This Inner Loop Header: Depth=2
	v_add_co_u32 v14, vcc_lo, v9, s16
	v_add_co_ci_u32_e64 v15, null, s17, v10, vcc_lo
	v_add_co_u32 v16, vcc_lo, v11, s16
	v_add_co_ci_u32_e64 v17, null, s17, v12, vcc_lo
	global_load_dword v14, v[14:15], off
	global_load_dword v15, v[16:17], off
	v_add_nc_u32_e32 v13, s40, v13
	s_add_u32 s16, s16, s51
	s_addc_u32 s17, s17, 0
	s_waitcnt vmcnt(0)
	v_div_scale_f32 v18, null, v15, v15, v14
	v_div_scale_f32 v21, vcc_lo, v14, v15, v14
	v_rcp_f32_e32 v19, v18
	v_fma_f32 v20, -v18, v19, 1.0
	v_fmac_f32_e32 v19, v20, v19
	v_mul_f32_e32 v20, v21, v19
	v_fma_f32 v22, -v18, v20, v21
	v_fmac_f32_e32 v20, v22, v19
	v_fma_f32 v18, -v18, v20, v21
	v_div_fmas_f32 v18, v18, v19, v20
	v_cmp_le_u32_e32 vcc_lo, s18, v13
	v_div_fixup_f32 v14, v18, v15, v14
	s_or_b32 s9, vcc_lo, s9
	v_fmac_f32_e32 v8, v14, v14
	global_store_dword v[16:17], v14, off
	s_andn2_b32 exec_lo, exec_lo, s9
	s_cbranch_execnz .LBB9_26
; %bb.27:                               ;   in Loop: Header=BB9_6 Depth=1
	s_inst_prefetch 0x2
	s_or_b32 exec_lo, exec_lo, s9
.LBB9_28:                               ;   in Loop: Header=BB9_6 Depth=1
	s_or_b32 exec_lo, exec_lo, s1
	s_andn2_b32 vcc_lo, exec_lo, s42
	s_mov_b32 s1, s40
	ds_write_b32 v1, v8
	s_waitcnt lgkmcnt(0)
	s_waitcnt_vscnt null, 0x0
	s_barrier
	buffer_gl0_inv
	s_cbranch_vccz .LBB9_45
.LBB9_29:                               ;   in Loop: Header=BB9_6 Depth=1
	ds_read_b32 v8, v2
	s_load_dword s9, s[14:15], 0x8
	s_waitcnt lgkmcnt(0)
	v_mul_f32_e32 v9, 0x4f800000, v8
	v_cmp_gt_f32_e32 vcc_lo, 0xf800000, v8
	s_cmp_lg_u32 s9, 1
	v_cndmask_b32_e32 v8, v8, v9, vcc_lo
	v_sqrt_f32_e32 v9, v8
	v_add_nc_u32_e32 v10, -1, v9
	v_add_nc_u32_e32 v11, 1, v9
	v_fma_f32 v12, -v10, v9, v8
	v_fma_f32 v13, -v11, v9, v8
	v_cmp_ge_f32_e64 s1, 0, v12
	v_cndmask_b32_e64 v9, v9, v10, s1
	v_cmp_lt_f32_e64 s1, 0, v13
	v_cndmask_b32_e64 v9, v9, v11, s1
	s_cselect_b32 s1, -1, 0
	v_mul_f32_e32 v10, 0x37800000, v9
	v_cndmask_b32_e32 v9, v9, v10, vcc_lo
	v_cmp_class_f32_e64 vcc_lo, v8, 0x260
	v_cndmask_b32_e32 v8, v9, v8, vcc_lo
.LBB9_30:                               ;   in Loop: Header=BB9_6 Depth=1
	s_add_i32 s2, s2, s41
	s_lshl_b32 s2, 1, s2
	s_ashr_i32 s9, s2, 31
	s_add_i32 s2, s2, s9
	s_xor_b32 s2, s2, s9
	v_cvt_f32_u32_e32 v9, s2
	s_sub_i32 s15, 0, s2
	v_rcp_iflag_f32_e32 v9, v9
	v_mul_f32_e32 v9, 0x4f7ffffe, v9
	v_cvt_u32_f32_e32 v9, v9
	v_readfirstlane_b32 s14, v9
	s_mul_i32 s15, s15, s14
	s_mul_hi_u32 s15, s14, s15
	s_add_i32 s14, s14, s15
	s_mul_hi_u32 s14, s54, s14
	s_mul_i32 s15, s14, s2
	s_add_i32 s16, s14, 1
	s_sub_i32 s15, s54, s15
	s_sub_i32 s17, s15, s2
	s_cmp_ge_u32 s15, s2
	s_cselect_b32 s14, s16, s14
	s_cselect_b32 s15, s17, s15
	s_add_i32 s16, s14, 1
	s_cmp_ge_u32 s15, s2
	s_cselect_b32 s2, s16, s14
	s_xor_b32 s9, s53, s9
	s_xor_b32 s2, s2, s9
	s_sub_i32 s14, s2, s9
	s_cmp_lt_i32 s14, 0
	s_cselect_b32 s2, -1, 0
	s_or_b32 s1, s1, s2
	s_and_b32 vcc_lo, exec_lo, s1
	s_cbranch_vccnz .LBB9_5
; %bb.31:                               ;   in Loop: Header=BB9_6 Depth=1
	s_mul_i32 s15, s8, s21
	s_lshl_b64 s[8:9], s[4:5], 2
	v_add_nc_u32_e32 v9, s15, v0
	v_cmp_gt_u32_e64 s1, s18, v0
	s_mov_b32 s5, 0
	v_ashrrev_i32_e32 v10, 31, v9
	v_lshlrev_b64 v[9:10], 2, v[9:10]
	v_add_co_u32 v9, vcc_lo, s49, v9
	v_add_co_ci_u32_e64 v10, null, s50, v10, vcc_lo
	v_add_co_u32 v11, vcc_lo, v5, s8
	v_add_co_ci_u32_e64 v12, null, s9, v6, vcc_lo
	s_branch .LBB9_33
.LBB9_32:                               ;   in Loop: Header=BB9_33 Depth=2
	s_or_b32 exec_lo, exec_lo, s8
	s_add_i32 s2, s5, 1
	s_cmp_lg_u32 s5, s14
	s_mov_b32 s5, s2
	s_waitcnt_vscnt null, 0x0
	s_barrier
	buffer_gl0_inv
	s_cbranch_scc0 .LBB9_5
.LBB9_33:                               ;   Parent Loop BB9_6 Depth=1
                                        ; =>  This Loop Header: Depth=2
                                        ;       Child Loop BB9_35 Depth 3
                                        ;       Child Loop BB9_38 Depth 3
	s_add_i32 s2, s5, s4
	s_cmp_lt_i32 s5, s11
	v_mov_b32_e32 v13, 0
	s_cselect_b32 s16, -1, 0
	s_and_b32 s8, s16, s1
	s_and_saveexec_b32 s17, s8
	s_cbranch_execz .LBB9_37
; %bb.34:                               ;   in Loop: Header=BB9_33 Depth=2
	v_mov_b32_e32 v13, 0
	v_mov_b32_e32 v14, v0
	s_mov_b64 s[8:9], 0
	s_mov_b32 s19, 0
	.p2align	6
.LBB9_35:                               ;   Parent Loop BB9_6 Depth=1
                                        ;     Parent Loop BB9_33 Depth=2
                                        ; =>    This Inner Loop Header: Depth=3
	v_add_co_u32 v15, vcc_lo, v11, s8
	v_add_co_ci_u32_e64 v16, null, s9, v12, vcc_lo
	v_add_co_u32 v17, vcc_lo, v9, s8
	v_add_co_ci_u32_e64 v18, null, s9, v10, vcc_lo
	global_load_dword v15, v[15:16], off
	v_add_nc_u32_e32 v14, s40, v14
	s_add_u32 s8, s8, s51
	s_addc_u32 s9, s9, 0
	s_waitcnt vmcnt(0)
	v_add_nc_u32_e32 v15, s4, v15
	v_mad_u64_u32 v[15:16], null, v15, s3, s[2:3]
	v_ashrrev_i32_e32 v16, 31, v15
	v_lshlrev_b64 v[15:16], 2, v[15:16]
	v_add_co_u32 v15, vcc_lo, s12, v15
	v_add_co_ci_u32_e64 v16, null, s13, v16, vcc_lo
	v_cmp_le_u32_e32 vcc_lo, s18, v14
	global_load_dword v17, v[17:18], off
	global_load_dword v15, v[15:16], off
	s_or_b32 s19, vcc_lo, s19
	s_waitcnt vmcnt(0)
	v_fmac_f32_e32 v13, v15, v17
	s_andn2_b32 exec_lo, exec_lo, s19
	s_cbranch_execnz .LBB9_35
; %bb.36:                               ;   in Loop: Header=BB9_33 Depth=2
	s_or_b32 exec_lo, exec_lo, s19
.LBB9_37:                               ;   in Loop: Header=BB9_33 Depth=2
	s_or_b32 exec_lo, exec_lo, s17
	s_andn2_b32 vcc_lo, exec_lo, s42
	s_mov_b32 s8, s40
	ds_write_b32 v1, v13
	s_waitcnt lgkmcnt(0)
	s_barrier
	buffer_gl0_inv
	s_cbranch_vccnz .LBB9_42
	.p2align	6
.LBB9_38:                               ;   Parent Loop BB9_6 Depth=1
                                        ;     Parent Loop BB9_33 Depth=2
                                        ; =>    This Inner Loop Header: Depth=3
	s_lshr_b32 s9, s8, 1
	v_cmp_gt_u32_e32 vcc_lo, s9, v0
	s_and_b32 s19, s16, vcc_lo
	s_and_saveexec_b32 s17, s19
	s_cbranch_execz .LBB9_40
; %bb.39:                               ;   in Loop: Header=BB9_38 Depth=3
	v_lshl_add_u32 v14, s9, 2, v1
	ds_read_b32 v14, v14
	s_waitcnt lgkmcnt(0)
	v_add_f32_e32 v13, v13, v14
	ds_write_b32 v1, v13
.LBB9_40:                               ;   in Loop: Header=BB9_38 Depth=3
	s_or_b32 exec_lo, exec_lo, s17
	s_cmp_lt_u32 s8, 4
	s_waitcnt lgkmcnt(0)
	s_barrier
	buffer_gl0_inv
	s_cbranch_scc1 .LBB9_42
; %bb.41:                               ;   in Loop: Header=BB9_38 Depth=3
	s_mov_b32 s8, s9
	s_branch .LBB9_38
.LBB9_42:                               ;   in Loop: Header=BB9_33 Depth=2
	s_and_b32 s9, s0, s16
	s_and_saveexec_b32 s8, s9
	s_cbranch_execz .LBB9_32
; %bb.43:                               ;   in Loop: Header=BB9_33 Depth=2
	v_div_scale_f32 v14, null, v8, v8, v13
	v_div_scale_f32 v17, vcc_lo, v13, v8, v13
	s_add_i32 s16, s2, s15
	v_rcp_f32_e32 v15, v14
	s_ashr_i32 s17, s16, 31
	s_lshl_b64 s[16:17], s[16:17], 2
	s_add_u32 s16, s37, s16
	s_addc_u32 s17, s38, s17
	v_fma_f32 v16, -v14, v15, 1.0
	v_fmac_f32_e32 v15, v16, v15
	v_mul_f32_e32 v16, v17, v15
	v_fma_f32 v18, -v14, v16, v17
	v_fmac_f32_e32 v16, v18, v15
	v_fma_f32 v14, -v14, v16, v17
	v_div_fmas_f32 v14, v14, v15, v16
	v_div_fixup_f32 v13, v14, v8, v13
	global_store_dword v2, v13, s[16:17]
	s_branch .LBB9_32
	.p2align	6
.LBB9_44:                               ;   in Loop: Header=BB9_45 Depth=2
	s_or_b32 exec_lo, exec_lo, s16
	s_cmp_lt_u32 s1, 4
	s_mov_b32 s1, s9
	s_waitcnt lgkmcnt(0)
	s_barrier
	buffer_gl0_inv
	s_cbranch_scc1 .LBB9_29
.LBB9_45:                               ;   Parent Loop BB9_6 Depth=1
                                        ; =>  This Inner Loop Header: Depth=2
	s_lshr_b32 s9, s1, 1
	s_mov_b32 s16, exec_lo
	v_cmpx_gt_u32_e64 s9, v0
	s_cbranch_execz .LBB9_44
; %bb.46:                               ;   in Loop: Header=BB9_45 Depth=2
	v_lshl_add_u32 v9, s9, 2, v1
	ds_read_b32 v9, v9
	s_waitcnt lgkmcnt(0)
	v_add_f32_e32 v8, v8, v9
	ds_write_b32 v1, v8
	s_branch .LBB9_44
.LBB9_47:
	s_endpgm
	.section	.rodata,"a",@progbits
	.p2align	6, 0x0
	.amdhsa_kernel _ZN9rocsolver6v33100L26stedcx_mergeVectors_kernelILb0EfEEviiPT0_lS3_lS3_iilS3_S3_Pi
		.amdhsa_group_segment_fixed_size 0
		.amdhsa_private_segment_fixed_size 0
		.amdhsa_kernarg_size 344
		.amdhsa_user_sgpr_count 6
		.amdhsa_user_sgpr_private_segment_buffer 1
		.amdhsa_user_sgpr_dispatch_ptr 0
		.amdhsa_user_sgpr_queue_ptr 0
		.amdhsa_user_sgpr_kernarg_segment_ptr 1
		.amdhsa_user_sgpr_dispatch_id 0
		.amdhsa_user_sgpr_flat_scratch_init 0
		.amdhsa_user_sgpr_private_segment_size 0
		.amdhsa_wavefront_size32 1
		.amdhsa_uses_dynamic_stack 0
		.amdhsa_system_sgpr_private_segment_wavefront_offset 0
		.amdhsa_system_sgpr_workgroup_id_x 1
		.amdhsa_system_sgpr_workgroup_id_y 1
		.amdhsa_system_sgpr_workgroup_id_z 1
		.amdhsa_system_sgpr_workgroup_info 0
		.amdhsa_system_vgpr_workitem_id 0
		.amdhsa_next_free_vgpr 23
		.amdhsa_next_free_sgpr 57
		.amdhsa_reserve_vcc 1
		.amdhsa_reserve_flat_scratch 0
		.amdhsa_float_round_mode_32 0
		.amdhsa_float_round_mode_16_64 0
		.amdhsa_float_denorm_mode_32 3
		.amdhsa_float_denorm_mode_16_64 3
		.amdhsa_dx10_clamp 1
		.amdhsa_ieee_mode 1
		.amdhsa_fp16_overflow 0
		.amdhsa_workgroup_processor_mode 1
		.amdhsa_memory_ordered 1
		.amdhsa_forward_progress 1
		.amdhsa_shared_vgpr_count 0
		.amdhsa_exception_fp_ieee_invalid_op 0
		.amdhsa_exception_fp_denorm_src 0
		.amdhsa_exception_fp_ieee_div_zero 0
		.amdhsa_exception_fp_ieee_overflow 0
		.amdhsa_exception_fp_ieee_underflow 0
		.amdhsa_exception_fp_ieee_inexact 0
		.amdhsa_exception_int_div_zero 0
	.end_amdhsa_kernel
	.section	.text._ZN9rocsolver6v33100L26stedcx_mergeVectors_kernelILb0EfEEviiPT0_lS3_lS3_iilS3_S3_Pi,"axG",@progbits,_ZN9rocsolver6v33100L26stedcx_mergeVectors_kernelILb0EfEEviiPT0_lS3_lS3_iilS3_S3_Pi,comdat
.Lfunc_end9:
	.size	_ZN9rocsolver6v33100L26stedcx_mergeVectors_kernelILb0EfEEviiPT0_lS3_lS3_iilS3_S3_Pi, .Lfunc_end9-_ZN9rocsolver6v33100L26stedcx_mergeVectors_kernelILb0EfEEviiPT0_lS3_lS3_iilS3_S3_Pi
                                        ; -- End function
	.set _ZN9rocsolver6v33100L26stedcx_mergeVectors_kernelILb0EfEEviiPT0_lS3_lS3_iilS3_S3_Pi.num_vgpr, 23
	.set _ZN9rocsolver6v33100L26stedcx_mergeVectors_kernelILb0EfEEviiPT0_lS3_lS3_iilS3_S3_Pi.num_agpr, 0
	.set _ZN9rocsolver6v33100L26stedcx_mergeVectors_kernelILb0EfEEviiPT0_lS3_lS3_iilS3_S3_Pi.numbered_sgpr, 57
	.set _ZN9rocsolver6v33100L26stedcx_mergeVectors_kernelILb0EfEEviiPT0_lS3_lS3_iilS3_S3_Pi.num_named_barrier, 0
	.set _ZN9rocsolver6v33100L26stedcx_mergeVectors_kernelILb0EfEEviiPT0_lS3_lS3_iilS3_S3_Pi.private_seg_size, 0
	.set _ZN9rocsolver6v33100L26stedcx_mergeVectors_kernelILb0EfEEviiPT0_lS3_lS3_iilS3_S3_Pi.uses_vcc, 1
	.set _ZN9rocsolver6v33100L26stedcx_mergeVectors_kernelILb0EfEEviiPT0_lS3_lS3_iilS3_S3_Pi.uses_flat_scratch, 0
	.set _ZN9rocsolver6v33100L26stedcx_mergeVectors_kernelILb0EfEEviiPT0_lS3_lS3_iilS3_S3_Pi.has_dyn_sized_stack, 0
	.set _ZN9rocsolver6v33100L26stedcx_mergeVectors_kernelILb0EfEEviiPT0_lS3_lS3_iilS3_S3_Pi.has_recursion, 0
	.set _ZN9rocsolver6v33100L26stedcx_mergeVectors_kernelILb0EfEEviiPT0_lS3_lS3_iilS3_S3_Pi.has_indirect_call, 0
	.section	.AMDGPU.csdata,"",@progbits
; Kernel info:
; codeLenInByte = 2652
; TotalNumSgprs: 59
; NumVgprs: 23
; ScratchSize: 0
; MemoryBound: 0
; FloatMode: 240
; IeeeMode: 1
; LDSByteSize: 0 bytes/workgroup (compile time only)
; SGPRBlocks: 0
; VGPRBlocks: 2
; NumSGPRsForWavesPerEU: 59
; NumVGPRsForWavesPerEU: 23
; Occupancy: 16
; WaveLimiterHint : 1
; COMPUTE_PGM_RSRC2:SCRATCH_EN: 0
; COMPUTE_PGM_RSRC2:USER_SGPR: 6
; COMPUTE_PGM_RSRC2:TRAP_HANDLER: 0
; COMPUTE_PGM_RSRC2:TGID_X_EN: 1
; COMPUTE_PGM_RSRC2:TGID_Y_EN: 1
; COMPUTE_PGM_RSRC2:TGID_Z_EN: 1
; COMPUTE_PGM_RSRC2:TIDIG_COMP_CNT: 0
	.section	.text._ZN9rocsolver6v33100L25stedcx_mergeUpdate_kernelIfEEviiPT_lS3_iilS3_S3_Pi,"axG",@progbits,_ZN9rocsolver6v33100L25stedcx_mergeUpdate_kernelIfEEviiPT_lS3_iilS3_S3_Pi,comdat
	.globl	_ZN9rocsolver6v33100L25stedcx_mergeUpdate_kernelIfEEviiPT_lS3_iilS3_S3_Pi ; -- Begin function _ZN9rocsolver6v33100L25stedcx_mergeUpdate_kernelIfEEviiPT_lS3_iilS3_S3_Pi
	.p2align	8
	.type	_ZN9rocsolver6v33100L25stedcx_mergeUpdate_kernelIfEEviiPT_lS3_iilS3_S3_Pi,@function
_ZN9rocsolver6v33100L25stedcx_mergeUpdate_kernelIfEEviiPT_lS3_iilS3_S3_Pi: ; @_ZN9rocsolver6v33100L25stedcx_mergeUpdate_kernelIfEEviiPT_lS3_iilS3_S3_Pi
; %bb.0:
	s_clause 0x1
	s_load_dwordx4 s[0:3], s[4:5], 0x18
	s_load_dwordx8 s[12:19], s[4:5], 0x28
	s_mov_b32 s10, s7
	s_waitcnt lgkmcnt(0)
	s_cmp_lg_u64 s[0:1], 0
	s_cbranch_scc0 .LBB10_27
; %bb.1:
	s_ashr_i32 s9, s8, 31
	s_mul_hi_u32 s7, s12, s8
	s_mul_i32 s11, s12, s9
	s_mul_i32 s13, s13, s8
	s_add_i32 s7, s7, s11
	s_mul_i32 s12, s12, s8
	s_add_i32 s13, s7, s13
	s_ashr_i32 s21, s2, 31
	s_lshl_b64 s[12:13], s[12:13], 2
	s_mov_b32 s20, s2
	s_add_u32 s2, s0, s12
	s_addc_u32 s7, s1, s13
	s_lshl_b64 s[0:1], s[20:21], 2
	s_add_u32 s12, s2, s0
	s_addc_u32 s13, s7, s1
	s_cbranch_execnz .LBB10_3
.LBB10_2:
	s_ashr_i32 s9, s8, 31
                                        ; implicit-def: $sgpr12_sgpr13
.LBB10_3:
	s_load_dwordx2 s[20:21], s[4:5], 0x0
	s_waitcnt lgkmcnt(0)
	s_mul_i32 s0, s21, 5
	s_add_i32 s0, s0, 2
	s_mul_i32 s0, s0, s8
	s_ashr_i32 s1, s0, 31
	s_lshl_b64 s[24:25], s[0:1], 2
	s_mov_b32 s0, s21
	s_add_u32 s2, s18, s24
	s_addc_u32 s7, s19, s25
	s_ashr_i32 s1, s21, 31
	s_lshl_b64 s[26:27], s[0:1], 2
	s_add_u32 s22, s2, s26
	s_addc_u32 s23, s7, s27
	s_load_dword s28, s[22:23], 0x4
	s_waitcnt lgkmcnt(0)
	s_cmp_ge_i32 s10, s28
	s_cbranch_scc1 .LBB10_26
; %bb.4:
	s_clause 0x1
	s_load_dwordx4 s[36:39], s[4:5], 0x8
	s_load_dword s11, s[4:5], 0x54
	v_mov_b32_e32 v5, 0
	s_waitcnt lgkmcnt(0)
	s_mul_i32 s0, s38, s9
	s_mul_hi_u32 s1, s38, s8
	s_mul_i32 s4, s39, s8
	s_add_i32 s1, s1, s0
	s_mul_i32 s0, s38, s8
	s_add_i32 s1, s1, s4
	s_mul_i32 s4, s8, s21
	s_lshl_b64 s[0:1], s[0:1], 2
	s_add_u32 s29, s36, s0
	s_addc_u32 s30, s37, s1
	s_add_u32 s31, s22, s26
	s_addc_u32 s33, s23, s27
	;; [unrolled: 2-line block ×3, first 2 shown]
	s_lshl_b32 s0, s4, 1
	s_ashr_i32 s1, s0, 31
	s_lshl_b64 s[4:5], s[0:1], 2
	s_add_u32 s1, s14, s4
	s_addc_u32 s4, s15, s5
	s_add_u32 s36, s1, s26
	s_addc_u32 s37, s4, s27
	s_lshl_b32 s38, 2, s20
	s_mul_i32 s4, s0, s21
	v_cvt_f32_u32_e32 v1, s38
	s_ashr_i32 s5, s4, 31
	s_and_b32 s39, 0xffff, s11
	s_ashr_i32 s40, s6, 31
	s_abs_i32 s41, s6
	v_rcp_iflag_f32_e32 v1, v1
	s_add_u32 s1, s26, s24
	s_addc_u32 s8, s27, s25
	s_add_u32 s1, s18, s1
	s_addc_u32 s8, s19, s8
	s_add_u32 s24, s1, 8
	v_cmp_eq_u32_e64 s0, 0, v0
	s_addc_u32 s25, s8, 0
	s_lshl_b64 s[4:5], s[4:5], 2
	s_lshl_b32 s26, s39, 2
	v_mul_f32_e32 v1, 0x4f7ffffe, v1
	s_add_u32 s27, s16, s4
	s_addc_u32 s42, s17, s5
	s_sub_i32 s43, 0, s38
	v_cvt_u32_f32_e32 v6, v1
	s_branch .LBB10_7
.LBB10_5:                               ;   in Loop: Header=BB10_7 Depth=1
	s_or_b32 exec_lo, exec_lo, s8
.LBB10_6:                               ;   in Loop: Header=BB10_7 Depth=1
	s_add_i32 s10, s10, 8
	s_cmp_ge_i32 s10, s28
	s_cbranch_scc1 .LBB10_26
.LBB10_7:                               ; =>This Loop Header: Depth=1
                                        ;     Child Loop BB10_15 Depth 2
                                        ;     Child Loop BB10_18 Depth 2
	;; [unrolled: 1-line block ×3, first 2 shown]
	s_ashr_i32 s11, s10, 31
	s_lshl_b64 s[4:5], s[10:11], 2
	s_barrier
	s_add_u32 s4, s2, s4
	s_addc_u32 s5, s7, s5
	s_waitcnt vmcnt(0)
	buffer_gl0_inv
	global_load_dwordx2 v[1:2], v5, s[4:5]
	s_mov_b32 s5, 0
	s_waitcnt vmcnt(0)
	v_readfirstlane_b32 s4, v1
	v_readfirstlane_b32 s1, v2
	s_sub_i32 s1, s1, s4
	s_cmp_lt_i32 s1, 3
	s_cbranch_scc1 .LBB10_12
; %bb.8:                                ;   in Loop: Header=BB10_7 Depth=1
	s_cmp_lt_u32 s1, 5
	s_mov_b32 s5, 1
	s_cbranch_scc1 .LBB10_12
; %bb.9:                                ;   in Loop: Header=BB10_7 Depth=1
	s_cmp_lt_u32 s1, 33
	s_mov_b32 s5, 2
	s_cbranch_scc1 .LBB10_12
; %bb.10:                               ;   in Loop: Header=BB10_7 Depth=1
	s_cmpk_lt_u32 s1, 0xe9
	s_mov_b32 s5, 4
	s_cbranch_scc1 .LBB10_12
; %bb.11:                               ;   in Loop: Header=BB10_7 Depth=1
	s_cmpk_lt_u32 s1, 0x128
	s_cselect_b32 s5, 5, 7
	s_cmpk_lt_u32 s1, 0x79b
	s_cselect_b32 s5, s5, 8
.LBB10_12:                              ;   in Loop: Header=BB10_7 Depth=1
	s_lshl_b32 s8, 1, s5
	s_add_i32 s1, s1, -1
	v_cvt_f32_u32_e32 v1, s8
	s_sub_i32 s11, 0, s8
	s_ashr_i32 s14, s1, 31
	s_add_i32 s1, s1, s14
	v_rcp_iflag_f32_e32 v1, v1
	s_xor_b32 s1, s1, s14
	v_mul_f32_e32 v1, 0x4f7ffffe, v1
	v_cvt_u32_f32_e32 v1, v1
	v_readfirstlane_b32 s9, v1
	s_mul_i32 s11, s11, s9
	s_mul_hi_u32 s11, s9, s11
	s_add_i32 s9, s9, s11
	s_mul_hi_u32 s9, s1, s9
	s_mul_i32 s11, s9, s8
	s_sub_i32 s1, s1, s11
	s_add_i32 s11, s9, 1
	s_sub_i32 s15, s1, s8
	s_cmp_ge_u32 s1, s8
	s_cselect_b32 s9, s11, s9
	s_cselect_b32 s1, s15, s1
	s_add_i32 s11, s9, 1
	s_cmp_ge_u32 s1, s8
	s_cselect_b32 s1, s11, s9
	s_xor_b32 s1, s1, s14
	s_sub_i32 s1, s1, s14
	s_add_i32 s1, s1, 1
	s_lshl_b32 s8, s1, s5
	s_cmp_ge_i32 s6, s8
	s_cselect_b32 s8, -1, 0
	s_cmp_ge_i32 s20, s5
	s_cselect_b32 s5, -1, 0
	s_or_b32 s5, s5, s8
	s_and_b32 vcc_lo, exec_lo, s5
	s_cbranch_vccnz .LBB10_6
; %bb.13:                               ;   in Loop: Header=BB10_7 Depth=1
	s_ashr_i32 s5, s4, 31
	s_lshl_b64 s[4:5], s[4:5], 2
	s_add_u32 s11, s22, s4
	s_addc_u32 s17, s23, s5
	s_add_u32 s46, s31, s4
	s_addc_u32 s47, s33, s5
	s_abs_i32 s8, s1
	v_cvt_f32_u32_e32 v1, s8
	s_sub_i32 s14, 0, s8
	v_rcp_iflag_f32_e32 v1, v1
	v_mul_f32_e32 v1, 0x4f7ffffe, v1
	v_cvt_u32_f32_e32 v1, v1
	v_readfirstlane_b32 s9, v1
	s_mul_i32 s14, s14, s9
	s_mul_hi_u32 s14, s9, s14
	s_add_i32 s9, s9, s14
	s_ashr_i32 s14, s1, 31
	s_mul_hi_u32 s9, s41, s9
	s_xor_b32 s14, s40, s14
	s_mul_i32 s15, s9, s8
	s_add_i32 s16, s9, 1
	s_sub_i32 s15, s41, s15
	s_sub_i32 s18, s15, s8
	s_cmp_ge_u32 s15, s8
	s_cselect_b32 s9, s16, s9
	s_cselect_b32 s15, s18, s15
	s_add_i32 s16, s9, 1
	s_cmp_ge_u32 s15, s8
	s_cselect_b32 s8, s16, s9
	v_readfirstlane_b32 s16, v6
	s_xor_b32 s8, s8, s14
	s_sub_i32 s8, s8, s14
	s_ashr_i32 s9, s8, 31
	s_mul_i32 s44, s43, s16
	s_lshl_b64 s[14:15], s[8:9], 2
	s_mul_hi_u32 s44, s16, s44
	s_add_u32 s18, s46, s14
	s_addc_u32 s19, s47, s15
	s_add_i32 s45, s8, s9
	s_add_i32 s16, s16, s44
	s_xor_b32 s45, s45, s9
	s_mul_hi_u32 s16, s45, s16
	s_mul_i32 s16, s16, s38
	s_sub_i32 s16, s45, s16
	s_sub_i32 s44, s16, s38
	s_cmp_ge_u32 s16, s38
	s_cselect_b32 s16, s44, s16
	s_sub_i32 s44, s16, s38
	s_cmp_ge_u32 s16, s38
	s_cselect_b32 s16, s44, s16
	s_xor_b32 s16, s16, s9
	s_sub_i32 s16, s16, s9
	s_sub_i32 s44, s8, s16
	s_ashr_i32 s45, s44, 31
	s_lshl_b64 s[44:45], s[44:45], 2
	s_add_u32 s44, s46, s44
	s_addc_u32 s45, s47, s45
	s_add_u32 s46, s11, s14
	s_addc_u32 s47, s17, s15
	s_clause 0x2
	global_load_dword v2, v5, s[46:47] offset:8
	global_load_dword v1, v5, s[18:19] offset:8
	;; [unrolled: 1-line block ×3, first 2 shown]
	s_cmp_lt_i32 s16, 1
	s_waitcnt vmcnt(2)
	v_mov_b32_e32 v8, v2
	s_cbranch_scc1 .LBB10_16
; %bb.14:                               ;   in Loop: Header=BB10_7 Depth=1
	s_add_i32 s9, s16, 1
	s_add_u32 s11, s4, s14
	s_addc_u32 s44, s5, s15
	s_ashr_i32 s17, s16, 31
	v_mov_b32_e32 v8, v2
	s_lshl_b64 s[18:19], s[16:17], 2
	s_sub_u32 s11, s11, s18
	s_subb_u32 s17, s44, s19
	s_add_u32 s18, s24, s11
	s_addc_u32 s19, s25, s17
.LBB10_15:                              ;   Parent Loop BB10_7 Depth=1
                                        ; =>  This Inner Loop Header: Depth=2
	global_load_dword v3, v5, s[18:19]
	s_add_i32 s9, s9, -1
	s_add_u32 s18, s18, 4
	s_addc_u32 s19, s19, 0
	s_cmp_lt_u32 s9, 2
	s_waitcnt vmcnt(0)
	v_add_nc_u32_e32 v8, v3, v8
	s_cbranch_scc0 .LBB10_15
.LBB10_16:                              ;   in Loop: Header=BB10_7 Depth=1
	s_not_b32 s9, s16
	s_add_i32 s18, s38, s9
	s_cmp_lt_i32 s18, 1
	s_cbranch_scc1 .LBB10_19
; %bb.17:                               ;   in Loop: Header=BB10_7 Depth=1
	s_ashr_i32 s19, s18, 31
	s_lshl_b64 s[18:19], s[18:19], 2
	s_add_u32 s4, s4, s18
	s_addc_u32 s5, s5, s19
	s_add_u32 s4, s4, s14
	s_addc_u32 s5, s5, s15
	;; [unrolled: 2-line block ×3, first 2 shown]
	s_sub_i32 s9, s38, s16
.LBB10_18:                              ;   Parent Loop BB10_7 Depth=1
                                        ; =>  This Inner Loop Header: Depth=2
	global_load_dword v3, v5, s[4:5]
	s_add_u32 s4, s4, -4
	s_addc_u32 s5, s5, -1
	s_add_i32 s9, s9, -1
	s_cmp_lt_u32 s9, 2
	s_waitcnt vmcnt(0)
	v_add_nc_u32_e32 v8, v3, v8
	s_cbranch_scc0 .LBB10_18
.LBB10_19:                              ;   in Loop: Header=BB10_7 Depth=1
	s_mul_i32 s1, s8, s1
	s_sub_i32 s1, s6, s1
	v_cmp_lt_i32_e32 vcc_lo, s1, v2
	s_cbranch_vccz .LBB10_6
; %bb.20:                               ;   in Loop: Header=BB10_7 Depth=1
	s_waitcnt vmcnt(1)
	v_add_nc_u32_e32 v2, s1, v1
	v_ashrrev_i32_e32 v3, 31, v2
	v_lshlrev_b64 v[3:4], 2, v[2:3]
	v_add_co_u32 v9, vcc_lo, s34, v3
	v_add_co_ci_u32_e64 v10, null, s35, v4, vcc_lo
	global_load_dword v1, v[9:10], off offset:8
	s_waitcnt vmcnt(0)
	v_cmp_ne_u32_e32 vcc_lo, 1, v1
	s_cbranch_vccnz .LBB10_6
; %bb.21:                               ;   in Loop: Header=BB10_7 Depth=1
	s_and_saveexec_b32 s1, s0
	s_cbranch_execz .LBB10_23
; %bb.22:                               ;   in Loop: Header=BB10_7 Depth=1
	v_add_co_u32 v9, vcc_lo, s36, v3
	v_add_co_ci_u32_e64 v10, null, s37, v4, vcc_lo
	v_add_co_u32 v3, vcc_lo, s29, v3
	v_add_co_ci_u32_e64 v4, null, s30, v4, vcc_lo
	global_load_dword v1, v[9:10], off
	s_waitcnt vmcnt(0)
	global_store_dword v[3:4], v1, off
.LBB10_23:                              ;   in Loop: Header=BB10_7 Depth=1
	s_or_b32 exec_lo, exec_lo, s1
	s_mov_b32 s8, exec_lo
	v_cmpx_lt_i32_e64 v0, v8
	s_cbranch_execz .LBB10_5
; %bb.24:                               ;   in Loop: Header=BB10_7 Depth=1
	v_add_nc_u32_e32 v1, v7, v0
	s_mov_b64 s[4:5], 0
	s_mov_b32 s9, 0
	v_mad_u64_u32 v[3:4], null, v2, s3, v[1:2]
	v_mad_u64_u32 v[9:10], null, v2, s21, v[1:2]
	v_add_nc_u32_e32 v2, v8, v7
	v_ashrrev_i32_e32 v4, 31, v3
	v_ashrrev_i32_e32 v10, 31, v9
	v_lshlrev_b64 v[3:4], 2, v[3:4]
	v_lshlrev_b64 v[7:8], 2, v[9:10]
	v_add_co_u32 v3, vcc_lo, s12, v3
	v_add_co_ci_u32_e64 v4, null, s13, v4, vcc_lo
	v_add_co_u32 v7, vcc_lo, s27, v7
	v_add_co_ci_u32_e64 v8, null, s42, v8, vcc_lo
	.p2align	6
.LBB10_25:                              ;   Parent Loop BB10_7 Depth=1
                                        ; =>  This Inner Loop Header: Depth=2
	v_add_co_u32 v9, vcc_lo, v7, s4
	v_add_co_ci_u32_e64 v10, null, s5, v8, vcc_lo
	v_add_nc_u32_e32 v1, s39, v1
	global_load_dword v11, v[9:10], off
	v_add_co_u32 v9, vcc_lo, v3, s4
	v_cmp_ge_i32_e64 s1, v1, v2
	v_add_co_ci_u32_e64 v10, null, s5, v4, vcc_lo
	s_add_u32 s4, s4, s26
	s_addc_u32 s5, s5, 0
	s_or_b32 s9, s1, s9
	s_waitcnt vmcnt(0)
	global_store_dword v[9:10], v11, off
	s_andn2_b32 exec_lo, exec_lo, s9
	s_cbranch_execnz .LBB10_25
	s_branch .LBB10_5
.LBB10_26:
	s_endpgm
.LBB10_27:
                                        ; implicit-def: $sgpr12_sgpr13
                                        ; implicit-def: $sgpr9
	s_branch .LBB10_2
	.section	.rodata,"a",@progbits
	.p2align	6, 0x0
	.amdhsa_kernel _ZN9rocsolver6v33100L25stedcx_mergeUpdate_kernelIfEEviiPT_lS3_iilS3_S3_Pi
		.amdhsa_group_segment_fixed_size 0
		.amdhsa_private_segment_fixed_size 0
		.amdhsa_kernarg_size 328
		.amdhsa_user_sgpr_count 6
		.amdhsa_user_sgpr_private_segment_buffer 1
		.amdhsa_user_sgpr_dispatch_ptr 0
		.amdhsa_user_sgpr_queue_ptr 0
		.amdhsa_user_sgpr_kernarg_segment_ptr 1
		.amdhsa_user_sgpr_dispatch_id 0
		.amdhsa_user_sgpr_flat_scratch_init 0
		.amdhsa_user_sgpr_private_segment_size 0
		.amdhsa_wavefront_size32 1
		.amdhsa_uses_dynamic_stack 0
		.amdhsa_system_sgpr_private_segment_wavefront_offset 0
		.amdhsa_system_sgpr_workgroup_id_x 1
		.amdhsa_system_sgpr_workgroup_id_y 1
		.amdhsa_system_sgpr_workgroup_id_z 1
		.amdhsa_system_sgpr_workgroup_info 0
		.amdhsa_system_vgpr_workitem_id 0
		.amdhsa_next_free_vgpr 12
		.amdhsa_next_free_sgpr 48
		.amdhsa_reserve_vcc 1
		.amdhsa_reserve_flat_scratch 0
		.amdhsa_float_round_mode_32 0
		.amdhsa_float_round_mode_16_64 0
		.amdhsa_float_denorm_mode_32 3
		.amdhsa_float_denorm_mode_16_64 3
		.amdhsa_dx10_clamp 1
		.amdhsa_ieee_mode 1
		.amdhsa_fp16_overflow 0
		.amdhsa_workgroup_processor_mode 1
		.amdhsa_memory_ordered 1
		.amdhsa_forward_progress 1
		.amdhsa_shared_vgpr_count 0
		.amdhsa_exception_fp_ieee_invalid_op 0
		.amdhsa_exception_fp_denorm_src 0
		.amdhsa_exception_fp_ieee_div_zero 0
		.amdhsa_exception_fp_ieee_overflow 0
		.amdhsa_exception_fp_ieee_underflow 0
		.amdhsa_exception_fp_ieee_inexact 0
		.amdhsa_exception_int_div_zero 0
	.end_amdhsa_kernel
	.section	.text._ZN9rocsolver6v33100L25stedcx_mergeUpdate_kernelIfEEviiPT_lS3_iilS3_S3_Pi,"axG",@progbits,_ZN9rocsolver6v33100L25stedcx_mergeUpdate_kernelIfEEviiPT_lS3_iilS3_S3_Pi,comdat
.Lfunc_end10:
	.size	_ZN9rocsolver6v33100L25stedcx_mergeUpdate_kernelIfEEviiPT_lS3_iilS3_S3_Pi, .Lfunc_end10-_ZN9rocsolver6v33100L25stedcx_mergeUpdate_kernelIfEEviiPT_lS3_iilS3_S3_Pi
                                        ; -- End function
	.set _ZN9rocsolver6v33100L25stedcx_mergeUpdate_kernelIfEEviiPT_lS3_iilS3_S3_Pi.num_vgpr, 12
	.set _ZN9rocsolver6v33100L25stedcx_mergeUpdate_kernelIfEEviiPT_lS3_iilS3_S3_Pi.num_agpr, 0
	.set _ZN9rocsolver6v33100L25stedcx_mergeUpdate_kernelIfEEviiPT_lS3_iilS3_S3_Pi.numbered_sgpr, 48
	.set _ZN9rocsolver6v33100L25stedcx_mergeUpdate_kernelIfEEviiPT_lS3_iilS3_S3_Pi.num_named_barrier, 0
	.set _ZN9rocsolver6v33100L25stedcx_mergeUpdate_kernelIfEEviiPT_lS3_iilS3_S3_Pi.private_seg_size, 0
	.set _ZN9rocsolver6v33100L25stedcx_mergeUpdate_kernelIfEEviiPT_lS3_iilS3_S3_Pi.uses_vcc, 1
	.set _ZN9rocsolver6v33100L25stedcx_mergeUpdate_kernelIfEEviiPT_lS3_iilS3_S3_Pi.uses_flat_scratch, 0
	.set _ZN9rocsolver6v33100L25stedcx_mergeUpdate_kernelIfEEviiPT_lS3_iilS3_S3_Pi.has_dyn_sized_stack, 0
	.set _ZN9rocsolver6v33100L25stedcx_mergeUpdate_kernelIfEEviiPT_lS3_iilS3_S3_Pi.has_recursion, 0
	.set _ZN9rocsolver6v33100L25stedcx_mergeUpdate_kernelIfEEviiPT_lS3_iilS3_S3_Pi.has_indirect_call, 0
	.section	.AMDGPU.csdata,"",@progbits
; Kernel info:
; codeLenInByte = 1504
; TotalNumSgprs: 50
; NumVgprs: 12
; ScratchSize: 0
; MemoryBound: 0
; FloatMode: 240
; IeeeMode: 1
; LDSByteSize: 0 bytes/workgroup (compile time only)
; SGPRBlocks: 0
; VGPRBlocks: 1
; NumSGPRsForWavesPerEU: 50
; NumVGPRsForWavesPerEU: 12
; Occupancy: 16
; WaveLimiterHint : 1
; COMPUTE_PGM_RSRC2:SCRATCH_EN: 0
; COMPUTE_PGM_RSRC2:USER_SGPR: 6
; COMPUTE_PGM_RSRC2:TRAP_HANDLER: 0
; COMPUTE_PGM_RSRC2:TGID_X_EN: 1
; COMPUTE_PGM_RSRC2:TGID_Y_EN: 1
; COMPUTE_PGM_RSRC2:TGID_Z_EN: 1
; COMPUTE_PGM_RSRC2:TIDIG_COMP_CNT: 0
	.section	.text._ZN9rocsolver6v33100L23stedcx_synthesis_kernelIfEEv15rocblas_erange_iiiPT_lPiS4_lS4_iliS5_S4_S3_,"axG",@progbits,_ZN9rocsolver6v33100L23stedcx_synthesis_kernelIfEEv15rocblas_erange_iiiPT_lPiS4_lS4_iliS5_S4_S3_,comdat
	.globl	_ZN9rocsolver6v33100L23stedcx_synthesis_kernelIfEEv15rocblas_erange_iiiPT_lPiS4_lS4_iliS5_S4_S3_ ; -- Begin function _ZN9rocsolver6v33100L23stedcx_synthesis_kernelIfEEv15rocblas_erange_iiiPT_lPiS4_lS4_iliS5_S4_S3_
	.p2align	8
	.type	_ZN9rocsolver6v33100L23stedcx_synthesis_kernelIfEEv15rocblas_erange_iiiPT_lPiS4_lS4_iliS5_S4_S3_,@function
_ZN9rocsolver6v33100L23stedcx_synthesis_kernelIfEEv15rocblas_erange_iiiPT_lPiS4_lS4_iliS5_S4_S3_: ; @_ZN9rocsolver6v33100L23stedcx_synthesis_kernelIfEEv15rocblas_erange_iiiPT_lPiS4_lS4_iliS5_S4_S3_
; %bb.0:
	s_clause 0x3
	s_load_dword s6, s[4:5], 0x7c
	s_load_dwordx8 s[20:27], s[4:5], 0x10
	s_load_dwordx4 s[8:11], s[4:5], 0x30
	s_load_dwordx4 s[0:3], s[4:5], 0x0
	s_ashr_i32 s17, s7, 31
	s_mov_b32 s16, s7
	s_waitcnt lgkmcnt(0)
	s_and_b32 s33, s6, 0xffff
	s_mul_hi_u32 s7, s22, s7
	s_mul_i32 s12, s22, s17
	s_mul_i32 s13, s23, s16
	s_add_i32 s7, s7, s12
	s_mul_i32 s6, s22, s16
	s_add_i32 s7, s7, s13
	s_mul_hi_u32 s12, s8, s16
	s_lshl_b64 s[6:7], s[6:7], 2
	s_mul_i32 s13, s8, s17
	s_add_u32 s6, s20, s6
	s_mul_i32 s9, s9, s16
	s_addc_u32 s7, s21, s7
	s_add_i32 s12, s12, s13
	s_mul_i32 s8, s8, s16
	s_add_i32 s9, s12, s9
	s_mov_b32 s12, -1
	s_lshl_b64 s[8:9], s[8:9], 2
	s_add_u32 s40, s26, s8
	s_addc_u32 s41, s27, s9
	s_lshl_b64 s[8:9], s[16:17], 2
	s_add_u32 s8, s24, s8
	s_addc_u32 s9, s25, s9
	s_cmpk_lg_i32 s0, 0xe7
	s_cbranch_scc0 .LBB11_52
; %bb.1:
	s_load_dwordx4 s[12:15], s[4:5], 0x58
	s_mul_i32 s18, s1, 5
	s_mov_b32 s28, s1
	s_add_i32 s18, s18, 2
	s_mov_b32 s44, exec_lo
	s_mul_i32 s18, s18, s16
	s_ashr_i32 s19, s18, 31
	s_lshl_b64 s[30:31], s[18:19], 2
	s_waitcnt lgkmcnt(0)
	s_add_u32 s20, s12, s30
	s_addc_u32 s21, s13, s31
	s_ashr_i32 s29, s1, 31
	s_lshl_b64 s[18:19], s[28:29], 2
	s_add_u32 s45, s20, s18
	s_addc_u32 s46, s21, s19
	s_lshl_b32 s20, s1, 1
	s_ashr_i32 s21, s20, 31
	s_lshl_b64 s[34:35], s[20:21], 2
	s_add_u32 s42, s45, s34
	s_addc_u32 s43, s46, s35
	v_cmpx_eq_u32_e32 0, v0
	s_cbranch_execz .LBB11_43
; %bb.2:
	s_lshl_b32 s38, s1, 2
	s_or_b32 s20, s38, 2
	s_mul_i32 s20, s20, s16
	s_ashr_i32 s21, s20, 31
	s_lshl_b64 s[20:21], s[20:21], 2
	s_add_u32 s20, s14, s20
	s_addc_u32 s21, s15, s21
	s_cmp_gt_i32 s1, 0
	s_load_dwordx2 s[22:23], s[20:21], 0x0
	s_cselect_b32 s29, -1, 0
	s_cmpk_eq_i32 s0, 0xe9
	s_cbranch_scc1 .LBB11_8
; %bb.3:
	s_mov_b32 s39, 0
	s_andn2_b32 vcc_lo, exec_lo, s29
	s_mov_b32 s26, 0
	s_cbranch_vccnz .LBB11_9
; %bb.4:
	s_add_u32 s0, s18, s30
	s_addc_u32 s24, s19, s31
	s_add_u32 s0, s0, s34
	s_addc_u32 s24, s24, s35
	s_add_u32 s0, s12, s0
	v_mov_b32_e32 v1, 0
	v_mov_b32_e32 v2, 1
	s_addc_u32 s25, s13, s24
	s_add_u32 s24, s0, 8
	s_addc_u32 s25, s25, 0
	s_mov_b64 s[36:37], s[6:7]
	s_mov_b32 s47, s28
	s_inst_prefetch 0x1
	s_branch .LBB11_6
	.p2align	6
.LBB11_5:                               ;   in Loop: Header=BB11_6 Depth=1
	s_add_i32 s47, s47, -1
	s_add_u32 s24, s24, 4
	s_addc_u32 s25, s25, 0
	s_add_u32 s36, s36, 4
	s_addc_u32 s37, s37, 0
	s_cmp_eq_u32 s47, 0
	s_cbranch_scc1 .LBB11_9
.LBB11_6:                               ; =>This Inner Loop Header: Depth=1
	global_load_dword v3, v1, s[36:37]
	global_store_dword v1, v1, s[24:25]
	s_waitcnt vmcnt(0) lgkmcnt(0)
	v_cmp_nle_f32_e32 vcc_lo, s22, v3
	v_cmp_nge_f32_e64 s0, s23, v3
	s_or_b32 s0, vcc_lo, s0
	s_and_b32 vcc_lo, exec_lo, s0
	s_cbranch_vccnz .LBB11_5
; %bb.7:                                ;   in Loop: Header=BB11_6 Depth=1
	s_ashr_i32 s27, s26, 31
	s_lshl_b64 s[48:49], s[26:27], 2
	s_add_i32 s26, s26, 1
	s_add_u32 s48, s40, s48
	s_addc_u32 s49, s41, s49
	global_store_dword v1, v2, s[24:25]
	global_store_dword v1, v3, s[48:49]
	s_branch .LBB11_5
.LBB11_8:
	s_mov_b32 s39, -1
                                        ; implicit-def: $sgpr26
.LBB11_9:
	s_inst_prefetch 0x2
	s_andn2_b32 vcc_lo, exec_lo, s39
	s_cbranch_vccnz .LBB11_42
; %bb.10:
	s_add_u32 s24, s20, s18
	s_addc_u32 s25, s21, s19
	s_add_u32 s47, s24, s18
	s_addc_u32 s48, s25, s19
	s_andn2_b32 vcc_lo, exec_lo, s29
	s_cbranch_vccnz .LBB11_15
; %bb.11:
	s_add_u32 s0, s18, s30
	s_addc_u32 s26, s19, s31
	s_add_u32 s0, s0, s34
	s_addc_u32 s26, s26, s35
	s_add_u32 s0, s12, s0
	v_mov_b32_e32 v1, 0
	v_mov_b32_e32 v2, 1
	s_addc_u32 s12, s13, s26
	s_add_u32 s26, s0, 8
	s_addc_u32 s27, s12, 0
	s_mov_b32 s29, 0
	s_mov_b64 s[30:31], s[6:7]
	s_mov_b32 s12, 0
	s_inst_prefetch 0x1
	s_branch .LBB11_13
	.p2align	6
.LBB11_12:                              ;   in Loop: Header=BB11_13 Depth=1
	s_add_i32 s29, s29, 1
	s_add_u32 s26, s26, 4
	s_addc_u32 s27, s27, 0
	s_add_u32 s30, s30, 4
	s_addc_u32 s31, s31, 0
	s_cmp_eq_u32 s1, s29
	s_cbranch_scc1 .LBB11_16
.LBB11_13:                              ; =>This Inner Loop Header: Depth=1
	global_load_dword v3, v1, s[30:31]
	global_store_dword v1, v1, s[26:27]
	s_waitcnt vmcnt(0) lgkmcnt(0)
	v_cmp_nle_f32_e32 vcc_lo, s22, v3
	v_cmp_nge_f32_e64 s0, s23, v3
	s_or_b32 s0, vcc_lo, s0
	s_and_b32 vcc_lo, exec_lo, s0
	s_cbranch_vccnz .LBB11_12
; %bb.14:                               ;   in Loop: Header=BB11_13 Depth=1
	s_ashr_i32 s13, s12, 31
	s_add_i32 s0, s12, 1
	s_lshl_b64 s[34:35], s[12:13], 2
	v_mov_b32_e32 v4, s29
	s_add_u32 s36, s45, s34
	s_addc_u32 s37, s46, s35
	s_add_i32 s12, s12, s1
	global_store_dword v1, v2, s[26:27]
	s_ashr_i32 s13, s12, 31
	s_lshl_b64 s[50:51], s[12:13], 2
	s_mov_b32 s12, s0
	s_add_u32 s50, s47, s50
	s_addc_u32 s51, s48, s51
	s_add_u32 s34, s47, s34
	s_addc_u32 s35, s48, s35
	global_store_dword v1, v3, s[50:51] offset:8
	global_store_dword v1, v3, s[34:35] offset:8
	;; [unrolled: 1-line block ×3, first 2 shown]
	s_branch .LBB11_12
.LBB11_15:
	s_mov_b32 s12, 0
.LBB11_16:
	s_inst_prefetch 0x2
	s_cmp_lt_i32 s12, 2
	s_mul_hi_i32 s0, s28, 12
	s_mul_i32 s39, s28, 12
	s_cbranch_scc1 .LBB11_23
; %bb.17:
	s_add_u32 s13, s47, s18
	s_waitcnt lgkmcnt(0)
	s_addc_u32 s22, s48, s19
	s_add_i32 s26, s38, 2
	v_mov_b32_e32 v1, 0
	s_mul_i32 s26, s16, s26
	s_mov_b32 s28, 1
	s_ashr_i32 s27, s26, 31
	s_lshl_b64 s[26:27], s[26:27], 2
	s_add_u32 s26, s39, s26
	s_addc_u32 s27, s0, s27
	s_add_u32 s26, s14, s26
	s_addc_u32 s27, s15, s27
	;; [unrolled: 2-line block ×3, first 2 shown]
	s_inst_prefetch 0x1
	s_branch .LBB11_19
	.p2align	6
.LBB11_18:                              ;   in Loop: Header=BB11_19 Depth=1
	s_add_i32 s28, s28, 1
	s_add_u32 s26, s26, 4
	s_addc_u32 s27, s27, 0
	s_cmp_lg_u32 s28, s12
	s_cbranch_scc0 .LBB11_23
.LBB11_19:                              ; =>This Loop Header: Depth=1
                                        ;     Child Loop BB11_20 Depth 2
	s_ashr_i32 s29, s28, 31
	s_mov_b64 s[36:37], s[26:27]
	s_lshl_b64 s[30:31], s[28:29], 2
	s_add_i32 s29, s28, -1
	s_add_u32 s30, s13, s30
	s_addc_u32 s31, s22, s31
	s_mov_b32 s35, s28
	global_load_dword v2, v1, s[30:31] offset:4
	s_mov_b32 s34, s29
	s_waitcnt vmcnt(0)
	v_mov_b32_e32 v3, v2
.LBB11_20:                              ;   Parent Loop BB11_19 Depth=1
                                        ; =>  This Inner Loop Header: Depth=2
	global_load_dword v4, v1, s[36:37]
	s_waitcnt vmcnt(0)
	v_cmp_lt_f32_e32 vcc_lo, v4, v3
	s_and_b32 s49, vcc_lo, exec_lo
	v_cndmask_b32_e32 v3, v3, v4, vcc_lo
	s_cselect_b32 s34, s35, s34
	s_add_i32 s35, s35, 1
	s_add_u32 s36, s36, 4
	s_addc_u32 s37, s37, 0
	s_cmp_eq_u32 s12, s35
	s_cbranch_scc0 .LBB11_20
; %bb.21:                               ;   in Loop: Header=BB11_19 Depth=1
	s_cmp_lg_u32 s34, s29
	s_cbranch_scc0 .LBB11_18
; %bb.22:                               ;   in Loop: Header=BB11_19 Depth=1
	s_ashr_i32 s35, s34, 31
	s_lshl_b64 s[34:35], s[34:35], 2
	s_add_u32 s34, s13, s34
	s_addc_u32 s35, s22, s35
	global_store_dword v1, v2, s[34:35] offset:8
	global_store_dword v1, v3, s[30:31] offset:4
	s_branch .LBB11_18
.LBB11_23:
	s_inst_prefetch 0x2
	s_cmp_lt_i32 s12, 1
	s_cbranch_scc1 .LBB11_41
; %bb.24:
	s_add_i32 s13, s12, -1
	s_cmp_gt_i32 s1, 1
	v_mov_b32_e32 v1, 0
	s_waitcnt lgkmcnt(0)
	s_cselect_b32 s22, -1, 0
	s_add_i32 s38, s38, 2
	s_mov_b32 s29, 0
	s_mul_i32 s26, s16, s38
	s_ashr_i32 s27, s26, 31
	s_lshl_b64 s[26:27], s[26:27], 2
	s_add_u32 s28, s39, s26
	s_addc_u32 s0, s0, s27
	s_add_u32 s30, s14, s28
	s_addc_u32 s31, s15, s0
	s_add_i32 s49, s1, -1
	s_add_u32 s0, s14, s26
	s_addc_u32 s15, s15, s27
	s_add_u32 s14, s0, 12
	s_addc_u32 s15, s15, 0
	s_mov_b32 s28, s29
	s_mov_b32 s26, s29
	s_branch .LBB11_27
.LBB11_25:                              ;   in Loop: Header=BB11_27 Depth=1
	s_mov_b32 s26, s0
.LBB11_26:                              ;   in Loop: Header=BB11_27 Depth=1
	s_add_i32 s28, s28, 1
	s_cmp_eq_u32 s28, s12
	s_cbranch_scc1 .LBB11_42
.LBB11_27:                              ; =>This Loop Header: Depth=1
                                        ;     Child Loop BB11_29 Depth 2
                                        ;     Child Loop BB11_36 Depth 2
	s_lshl_b64 s[34:35], s[28:29], 2
	s_mov_b64 s[38:39], s[30:31]
	s_add_u32 s36, s47, s34
	s_addc_u32 s37, s48, s35
	s_mov_b32 s27, s29
	global_load_dword v2, v1, s[36:37] offset:8
	s_branch .LBB11_29
	.p2align	6
.LBB11_28:                              ;   in Loop: Header=BB11_29 Depth=2
	s_add_i32 s27, s0, 1
	s_add_u32 s38, s36, 4
	s_addc_u32 s39, s37, 0
	s_cmp_eq_u32 s12, s27
	s_mov_b32 s50, 0
	s_cselect_b32 s51, -1, 0
	s_andn2_b32 vcc_lo, exec_lo, s51
	s_cbranch_vccz .LBB11_31
.LBB11_29:                              ;   Parent Loop BB11_27 Depth=1
                                        ; =>  This Inner Loop Header: Depth=2
	global_load_dword v4, v1, s[38:39] offset:8
	s_mov_b64 s[36:37], s[38:39]
	s_mov_b32 s0, s27
	s_waitcnt vmcnt(0)
	v_cmp_neq_f32_e32 vcc_lo, v2, v4
	s_cbranch_vccnz .LBB11_28
; %bb.30:                               ;   in Loop: Header=BB11_27 Depth=1
	s_mov_b32 s50, -1
                                        ; implicit-def: $sgpr27
                                        ; implicit-def: $sgpr38_sgpr39
.LBB11_31:                              ;   in Loop: Header=BB11_27 Depth=1
	s_and_b32 vcc_lo, exec_lo, s50
	s_cbranch_vccz .LBB11_26
; %bb.32:                               ;   in Loop: Header=BB11_27 Depth=1
	v_mov_b32_e32 v5, s23
	s_cmp_eq_u32 s0, s13
	s_cbranch_scc1 .LBB11_34
; %bb.33:                               ;   in Loop: Header=BB11_27 Depth=1
	global_load_dword v5, v1, s[36:37] offset:12
.LBB11_34:                              ;   in Loop: Header=BB11_27 Depth=1
	s_clause 0x1
	global_load_dword v6, v1, s[24:25] offset:8
	global_load_dword v3, v1, s[20:21] offset:8
	s_waitcnt vmcnt(2)
	v_sub_f32_e32 v4, v5, v4
	s_andn2_b32 vcc_lo, exec_lo, s22
	v_fma_f32 v4, 0.5, v4, v2
	s_waitcnt vmcnt(1)
	v_sub_f32_e32 v5, v6, v4
	s_waitcnt vmcnt(0)
	v_cmp_le_f32_e64 s0, v5, v3
	v_cndmask_b32_e64 v6, 0, 1, s0
	v_readfirstlane_b32 s27, v6
	s_cbranch_vccnz .LBB11_37
; %bb.35:                               ;   in Loop: Header=BB11_27 Depth=1
	v_cmp_gt_f32_e64 s36, v5, -v3
	s_and_b32 s0, s0, s36
	s_mov_b64 s[36:37], s[14:15]
	v_cndmask_b32_e64 v5, v5, -v3, s0
	s_mov_b32 s0, s49
	s_inst_prefetch 0x1
	.p2align	6
.LBB11_36:                              ;   Parent Loop BB11_27 Depth=1
                                        ; =>  This Inner Loop Header: Depth=2
	s_add_u32 s38, s36, s18
	s_addc_u32 s39, s37, s19
	s_clause 0x1
	global_load_dword v6, v1, s[36:37]
	global_load_dword v7, v1, s[38:39]
	s_waitcnt vmcnt(1)
	v_div_scale_f32 v8, null, v5, v5, v6
	v_div_scale_f32 v11, vcc_lo, v6, v5, v6
	s_waitcnt vmcnt(0)
	v_sub_f32_e32 v7, v7, v4
	v_rcp_f32_e32 v9, v8
	v_fma_f32 v10, -v8, v9, 1.0
	v_fmac_f32_e32 v9, v10, v9
	v_mul_f32_e32 v10, v11, v9
	v_fma_f32 v12, -v8, v10, v11
	v_fmac_f32_e32 v10, v12, v9
	v_fma_f32 v8, -v8, v10, v11
	v_div_fmas_f32 v8, v8, v9, v10
	v_div_fixup_f32 v5, v8, v5, v6
	v_sub_f32_e32 v5, v7, v5
	v_cmp_le_f32_e32 vcc_lo, v5, v3
	v_cmp_gt_f32_e64 s38, v5, -v3
	s_and_b32 s38, vcc_lo, s38
	s_cmp_lg_u32 vcc_lo, 0
	v_cndmask_b32_e64 v5, v5, -v3, s38
	s_addc_u32 s27, s27, 0
	s_add_i32 s0, s0, -1
	s_add_u32 s36, s36, 4
	s_addc_u32 s37, s37, 0
	s_cmp_lg_u32 s0, 0
	s_cbranch_scc1 .LBB11_36
.LBB11_37:                              ;   in Loop: Header=BB11_27 Depth=1
	s_inst_prefetch 0x2
	s_cmp_lt_i32 s27, s2
	s_cselect_b32 s0, -1, 0
	s_cmp_gt_i32 s27, s3
	s_cselect_b32 s27, -1, 0
	s_or_b32 s0, s0, s27
	s_mov_b32 s27, -1
	s_and_b32 vcc_lo, exec_lo, s0
                                        ; implicit-def: $sgpr0
	s_cbranch_vccnz .LBB11_39
; %bb.38:                               ;   in Loop: Header=BB11_27 Depth=1
	s_ashr_i32 s27, s26, 31
	s_lshl_b64 s[36:37], s[26:27], 2
	s_mov_b32 s27, 0
	s_add_u32 s36, s40, s36
	s_addc_u32 s37, s41, s37
	s_add_i32 s0, s26, 1
	global_store_dword v1, v2, s[36:37]
.LBB11_39:                              ;   in Loop: Header=BB11_27 Depth=1
	s_andn2_b32 vcc_lo, exec_lo, s27
	s_cbranch_vccnz .LBB11_25
; %bb.40:                               ;   in Loop: Header=BB11_27 Depth=1
	s_add_u32 s34, s45, s34
	s_addc_u32 s35, s46, s35
	s_mov_b32 s0, s26
	global_load_dword v2, v1, s[34:35] offset:8
	s_waitcnt vmcnt(0)
	v_ashrrev_i32_e32 v3, 31, v2
	v_lshlrev_b64 v[2:3], 2, v[2:3]
	v_add_co_u32 v2, vcc_lo, s42, v2
	v_add_co_ci_u32_e64 v3, null, s43, v3, vcc_lo
	global_store_dword v[2:3], v1, off offset:8
	s_branch .LBB11_25
.LBB11_41:
	s_mov_b32 s26, 0
.LBB11_42:
	v_mov_b32_e32 v1, 0
	v_mov_b32_e32 v2, s26
	global_store_dword v1, v2, s[8:9]
.LBB11_43:
	s_or_b32 exec_lo, exec_lo, s44
	s_cmp_lt_i32 s1, 1
	s_waitcnt lgkmcnt(0)
	s_waitcnt_vscnt null, 0x0
	s_barrier
	buffer_gl0_inv
	s_cbranch_scc1 .LBB11_51
; %bb.44:
	s_clause 0x1
	s_load_dwordx2 s[14:15], s[4:5], 0x48
	s_load_dword s12, s[4:5], 0x40
	v_cmp_le_i32_e32 vcc_lo, s1, v0
	v_mov_b32_e32 v6, 0
	v_mov_b32_e32 v1, v0
	s_mov_b32 s3, 0
	s_waitcnt lgkmcnt(0)
	s_mul_i32 s0, s14, s17
	s_mul_hi_u32 s2, s14, s16
	s_mul_i32 s5, s15, s16
	s_add_i32 s0, s2, s0
	s_mul_i32 s4, s14, s16
	s_add_i32 s5, s0, s5
	s_mov_b32 s2, s3
	s_lshl_b64 s[4:5], s[4:5], 2
	s_mov_b32 s15, s3
	s_add_u32 s4, s10, s4
	s_addc_u32 s5, s11, s5
	s_lshl_b32 s13, s33, 2
	s_xor_b32 s14, vcc_lo, -1
	s_branch .LBB11_47
.LBB11_45:                              ;   in Loop: Header=BB11_47 Depth=1
	s_or_b32 exec_lo, exec_lo, s16
	s_add_i32 s15, s15, 1
.LBB11_46:                              ;   in Loop: Header=BB11_47 Depth=1
	v_add_nc_u32_e32 v1, s12, v1
	s_add_i32 s2, s2, 1
	s_waitcnt_vscnt null, 0x0
	s_cmp_lg_u32 s2, s1
	s_barrier
	buffer_gl0_inv
	s_cbranch_scc0 .LBB11_51
.LBB11_47:                              ; =>This Loop Header: Depth=1
                                        ;     Child Loop BB11_50 Depth 2
	s_lshl_b64 s[10:11], s[2:3], 2
	s_add_u32 s10, s42, s10
	s_addc_u32 s11, s43, s11
	global_load_dword v2, v6, s[10:11] offset:8
	s_waitcnt vmcnt(0)
	v_cmp_ne_u32_e32 vcc_lo, 1, v2
	s_cbranch_vccnz .LBB11_46
; %bb.48:                               ;   in Loop: Header=BB11_47 Depth=1
	s_cmp_lg_u32 s2, s15
	s_cselect_b32 s0, -1, 0
	s_and_b32 s0, s0, s14
	s_and_saveexec_b32 s16, s0
	s_cbranch_execz .LBB11_45
; %bb.49:                               ;   in Loop: Header=BB11_47 Depth=1
	v_mad_u64_u32 v[4:5], null, s15, s12, v[0:1]
	v_ashrrev_i32_e32 v2, 31, v1
	v_mov_b32_e32 v7, v0
	s_mov_b32 s17, 0
	s_mov_b64 s[10:11], s[4:5]
	v_lshlrev_b64 v[2:3], 2, v[1:2]
	v_ashrrev_i32_e32 v5, 31, v4
	v_lshlrev_b64 v[4:5], 2, v[4:5]
	.p2align	6
.LBB11_50:                              ;   Parent Loop BB11_47 Depth=1
                                        ; =>  This Inner Loop Header: Depth=2
	v_add_co_u32 v8, vcc_lo, s10, v2
	v_add_co_ci_u32_e64 v9, null, s11, v3, vcc_lo
	v_add_nc_u32_e32 v7, s33, v7
	global_load_dword v10, v[8:9], off
	v_add_co_u32 v8, vcc_lo, s10, v4
	v_cmp_le_i32_e64 s0, s1, v7
	v_add_co_ci_u32_e64 v9, null, s11, v5, vcc_lo
	s_add_u32 s10, s10, s13
	s_addc_u32 s11, s11, 0
	s_or_b32 s17, s0, s17
	s_waitcnt vmcnt(0)
	global_store_dword v[8:9], v10, off
	s_andn2_b32 exec_lo, exec_lo, s17
	s_cbranch_execnz .LBB11_50
	s_branch .LBB11_45
.LBB11_51:
	s_mov_b32 s12, 0
.LBB11_52:
	s_and_b32 vcc_lo, exec_lo, s12
	s_cbranch_vccz .LBB11_56
; %bb.53:
	v_mov_b32_e32 v1, 0
	v_mov_b32_e32 v2, s1
	s_mov_b32 s0, exec_lo
	global_store_dword v1, v2, s[8:9]
	v_cmpx_gt_i32_e64 s1, v0
	s_cbranch_execz .LBB11_56
; %bb.54:
	v_lshlrev_b32_e32 v2, 2, v0
	s_mov_b32 s2, 0
	s_lshl_b32 s3, s33, 2
	.p2align	6
.LBB11_55:                              ; =>This Inner Loop Header: Depth=1
	v_add_co_u32 v3, vcc_lo, s6, v2
	v_add_co_ci_u32_e64 v4, null, s7, v1, vcc_lo
	v_add_nc_u32_e32 v0, s33, v0
	global_load_dword v5, v[3:4], off
	v_add_co_u32 v3, vcc_lo, s40, v2
	v_add_co_ci_u32_e64 v4, null, s41, v1, vcc_lo
	v_cmp_le_i32_e32 vcc_lo, s1, v0
	v_add_co_u32 v2, s0, v2, s3
	v_add_co_ci_u32_e64 v1, null, 0, v1, s0
	s_or_b32 s2, vcc_lo, s2
	s_waitcnt vmcnt(0)
	global_store_dword v[3:4], v5, off
	s_andn2_b32 exec_lo, exec_lo, s2
	s_cbranch_execnz .LBB11_55
.LBB11_56:
	s_endpgm
	.section	.rodata,"a",@progbits
	.p2align	6, 0x0
	.amdhsa_kernel _ZN9rocsolver6v33100L23stedcx_synthesis_kernelIfEEv15rocblas_erange_iiiPT_lPiS4_lS4_iliS5_S4_S3_
		.amdhsa_group_segment_fixed_size 0
		.amdhsa_private_segment_fixed_size 0
		.amdhsa_kernarg_size 368
		.amdhsa_user_sgpr_count 6
		.amdhsa_user_sgpr_private_segment_buffer 1
		.amdhsa_user_sgpr_dispatch_ptr 0
		.amdhsa_user_sgpr_queue_ptr 0
		.amdhsa_user_sgpr_kernarg_segment_ptr 1
		.amdhsa_user_sgpr_dispatch_id 0
		.amdhsa_user_sgpr_flat_scratch_init 0
		.amdhsa_user_sgpr_private_segment_size 0
		.amdhsa_wavefront_size32 1
		.amdhsa_uses_dynamic_stack 0
		.amdhsa_system_sgpr_private_segment_wavefront_offset 0
		.amdhsa_system_sgpr_workgroup_id_x 1
		.amdhsa_system_sgpr_workgroup_id_y 1
		.amdhsa_system_sgpr_workgroup_id_z 0
		.amdhsa_system_sgpr_workgroup_info 0
		.amdhsa_system_vgpr_workitem_id 0
		.amdhsa_next_free_vgpr 13
		.amdhsa_next_free_sgpr 52
		.amdhsa_reserve_vcc 1
		.amdhsa_reserve_flat_scratch 0
		.amdhsa_float_round_mode_32 0
		.amdhsa_float_round_mode_16_64 0
		.amdhsa_float_denorm_mode_32 3
		.amdhsa_float_denorm_mode_16_64 3
		.amdhsa_dx10_clamp 1
		.amdhsa_ieee_mode 1
		.amdhsa_fp16_overflow 0
		.amdhsa_workgroup_processor_mode 1
		.amdhsa_memory_ordered 1
		.amdhsa_forward_progress 1
		.amdhsa_shared_vgpr_count 0
		.amdhsa_exception_fp_ieee_invalid_op 0
		.amdhsa_exception_fp_denorm_src 0
		.amdhsa_exception_fp_ieee_div_zero 0
		.amdhsa_exception_fp_ieee_overflow 0
		.amdhsa_exception_fp_ieee_underflow 0
		.amdhsa_exception_fp_ieee_inexact 0
		.amdhsa_exception_int_div_zero 0
	.end_amdhsa_kernel
	.section	.text._ZN9rocsolver6v33100L23stedcx_synthesis_kernelIfEEv15rocblas_erange_iiiPT_lPiS4_lS4_iliS5_S4_S3_,"axG",@progbits,_ZN9rocsolver6v33100L23stedcx_synthesis_kernelIfEEv15rocblas_erange_iiiPT_lPiS4_lS4_iliS5_S4_S3_,comdat
.Lfunc_end11:
	.size	_ZN9rocsolver6v33100L23stedcx_synthesis_kernelIfEEv15rocblas_erange_iiiPT_lPiS4_lS4_iliS5_S4_S3_, .Lfunc_end11-_ZN9rocsolver6v33100L23stedcx_synthesis_kernelIfEEv15rocblas_erange_iiiPT_lPiS4_lS4_iliS5_S4_S3_
                                        ; -- End function
	.set _ZN9rocsolver6v33100L23stedcx_synthesis_kernelIfEEv15rocblas_erange_iiiPT_lPiS4_lS4_iliS5_S4_S3_.num_vgpr, 13
	.set _ZN9rocsolver6v33100L23stedcx_synthesis_kernelIfEEv15rocblas_erange_iiiPT_lPiS4_lS4_iliS5_S4_S3_.num_agpr, 0
	.set _ZN9rocsolver6v33100L23stedcx_synthesis_kernelIfEEv15rocblas_erange_iiiPT_lPiS4_lS4_iliS5_S4_S3_.numbered_sgpr, 52
	.set _ZN9rocsolver6v33100L23stedcx_synthesis_kernelIfEEv15rocblas_erange_iiiPT_lPiS4_lS4_iliS5_S4_S3_.num_named_barrier, 0
	.set _ZN9rocsolver6v33100L23stedcx_synthesis_kernelIfEEv15rocblas_erange_iiiPT_lPiS4_lS4_iliS5_S4_S3_.private_seg_size, 0
	.set _ZN9rocsolver6v33100L23stedcx_synthesis_kernelIfEEv15rocblas_erange_iiiPT_lPiS4_lS4_iliS5_S4_S3_.uses_vcc, 1
	.set _ZN9rocsolver6v33100L23stedcx_synthesis_kernelIfEEv15rocblas_erange_iiiPT_lPiS4_lS4_iliS5_S4_S3_.uses_flat_scratch, 0
	.set _ZN9rocsolver6v33100L23stedcx_synthesis_kernelIfEEv15rocblas_erange_iiiPT_lPiS4_lS4_iliS5_S4_S3_.has_dyn_sized_stack, 0
	.set _ZN9rocsolver6v33100L23stedcx_synthesis_kernelIfEEv15rocblas_erange_iiiPT_lPiS4_lS4_iliS5_S4_S3_.has_recursion, 0
	.set _ZN9rocsolver6v33100L23stedcx_synthesis_kernelIfEEv15rocblas_erange_iiiPT_lPiS4_lS4_iliS5_S4_S3_.has_indirect_call, 0
	.section	.AMDGPU.csdata,"",@progbits
; Kernel info:
; codeLenInByte = 2396
; TotalNumSgprs: 54
; NumVgprs: 13
; ScratchSize: 0
; MemoryBound: 0
; FloatMode: 240
; IeeeMode: 1
; LDSByteSize: 0 bytes/workgroup (compile time only)
; SGPRBlocks: 0
; VGPRBlocks: 1
; NumSGPRsForWavesPerEU: 54
; NumVGPRsForWavesPerEU: 13
; Occupancy: 16
; WaveLimiterHint : 1
; COMPUTE_PGM_RSRC2:SCRATCH_EN: 0
; COMPUTE_PGM_RSRC2:USER_SGPR: 6
; COMPUTE_PGM_RSRC2:TRAP_HANDLER: 0
; COMPUTE_PGM_RSRC2:TGID_X_EN: 1
; COMPUTE_PGM_RSRC2:TGID_Y_EN: 1
; COMPUTE_PGM_RSRC2:TGID_Z_EN: 0
; COMPUTE_PGM_RSRC2:TIDIG_COMP_CNT: 0
	.section	.text._ZN9rocsolver6v33100L8copy_matIfPfNS0_7no_maskEEEvNS0_17copymat_directionEiiT0_iilPT_T1_13rocblas_fill_17rocblas_diagonal_,"axG",@progbits,_ZN9rocsolver6v33100L8copy_matIfPfNS0_7no_maskEEEvNS0_17copymat_directionEiiT0_iilPT_T1_13rocblas_fill_17rocblas_diagonal_,comdat
	.globl	_ZN9rocsolver6v33100L8copy_matIfPfNS0_7no_maskEEEvNS0_17copymat_directionEiiT0_iilPT_T1_13rocblas_fill_17rocblas_diagonal_ ; -- Begin function _ZN9rocsolver6v33100L8copy_matIfPfNS0_7no_maskEEEvNS0_17copymat_directionEiiT0_iilPT_T1_13rocblas_fill_17rocblas_diagonal_
	.p2align	8
	.type	_ZN9rocsolver6v33100L8copy_matIfPfNS0_7no_maskEEEvNS0_17copymat_directionEiiT0_iilPT_T1_13rocblas_fill_17rocblas_diagonal_,@function
_ZN9rocsolver6v33100L8copy_matIfPfNS0_7no_maskEEEvNS0_17copymat_directionEiiT0_iilPT_T1_13rocblas_fill_17rocblas_diagonal_: ; @_ZN9rocsolver6v33100L8copy_matIfPfNS0_7no_maskEEEvNS0_17copymat_directionEiiT0_iilPT_T1_13rocblas_fill_17rocblas_diagonal_
; %bb.0:
	s_clause 0x1
	s_load_dword s0, s[4:5], 0x4c
	s_load_dwordx4 s[12:15], s[4:5], 0x0
	s_waitcnt lgkmcnt(0)
	s_lshr_b32 s1, s0, 16
	s_and_b32 s0, s0, 0xffff
	v_mad_u64_u32 v[2:3], null, s6, s0, v[0:1]
	v_mad_u64_u32 v[0:1], null, s7, s1, v[1:2]
	v_cmp_gt_u32_e32 vcc_lo, s13, v2
	v_cmp_gt_u32_e64 s0, s14, v0
	s_and_b32 s0, s0, vcc_lo
	s_and_saveexec_b32 s1, s0
	s_cbranch_execz .LBB12_14
; %bb.1:
	s_load_dwordx2 s[2:3], s[4:5], 0x34
	s_waitcnt lgkmcnt(0)
	s_cmpk_lt_i32 s2, 0x7a
	s_cbranch_scc1 .LBB12_4
; %bb.2:
	s_cmpk_gt_i32 s2, 0x7a
	s_cbranch_scc0 .LBB12_5
; %bb.3:
	s_cmpk_lg_i32 s2, 0x7b
	s_mov_b32 s1, -1
	s_cselect_b32 s6, -1, 0
	s_cbranch_execz .LBB12_6
	s_branch .LBB12_7
.LBB12_4:
	s_mov_b32 s6, 0
	s_mov_b32 s1, 0
	s_cbranch_execnz .LBB12_8
	s_branch .LBB12_10
.LBB12_5:
	s_mov_b32 s1, 0
	s_mov_b32 s6, 0
.LBB12_6:
	v_cmp_gt_u32_e32 vcc_lo, v2, v0
	v_cmp_le_u32_e64 s0, v2, v0
	s_andn2_b32 s1, s1, exec_lo
	s_andn2_b32 s6, s6, exec_lo
	s_and_b32 s7, vcc_lo, exec_lo
	s_and_b32 s0, s0, exec_lo
	s_or_b32 s1, s1, s7
	s_or_b32 s6, s6, s0
.LBB12_7:
	s_branch .LBB12_10
.LBB12_8:
	s_cmpk_eq_i32 s2, 0x79
	s_mov_b32 s6, -1
	s_cbranch_scc0 .LBB12_10
; %bb.9:
	v_cmp_gt_u32_e32 vcc_lo, v0, v2
	v_cmp_le_u32_e64 s0, v0, v2
	s_andn2_b32 s1, s1, exec_lo
	s_and_b32 s2, vcc_lo, exec_lo
	s_orn2_b32 s6, s0, exec_lo
	s_or_b32 s1, s1, s2
.LBB12_10:
	s_and_saveexec_b32 s0, s6
; %bb.11:
	v_cmp_eq_u32_e32 vcc_lo, v2, v0
	s_cmpk_eq_i32 s3, 0x83
	s_cselect_b32 s2, -1, 0
	s_andn2_b32 s1, s1, exec_lo
	s_and_b32 s2, s2, vcc_lo
	s_and_b32 s2, s2, exec_lo
	s_or_b32 s1, s1, s2
; %bb.12:
	s_or_b32 exec_lo, exec_lo, s0
	s_and_b32 exec_lo, exec_lo, s1
	s_cbranch_execz .LBB12_14
; %bb.13:
	s_load_dwordx8 s[0:7], s[4:5], 0x10
	s_ashr_i32 s9, s13, 31
	s_ashr_i32 s10, s14, 31
	s_mul_i32 s16, s9, s8
	s_mul_hi_u32 s11, s13, s8
	s_mul_i32 s15, s13, s8
	s_mul_i32 s10, s15, s10
	s_waitcnt lgkmcnt(0)
	s_mul_i32 s5, s5, s8
	s_mul_hi_u32 s9, s4, s8
	s_mul_i32 s4, s4, s8
	s_add_i32 s5, s9, s5
	s_ashr_i32 s9, s2, 31
	s_lshl_b64 s[4:5], s[4:5], 2
	s_mov_b32 s8, s2
	s_add_u32 s2, s0, s4
	s_addc_u32 s4, s1, s5
	s_lshl_b64 s[0:1], s[8:9], 2
	s_mul_hi_u32 s5, s15, s14
	s_add_u32 s2, s2, s0
	s_addc_u32 s4, s4, s1
	s_add_i32 s0, s11, s16
	s_add_i32 s1, s5, s10
	s_mul_i32 s5, s0, s14
	s_mul_i32 s0, s15, s14
	s_add_i32 s1, s1, s5
	s_lshl_b64 s[0:1], s[0:1], 2
	s_add_u32 s0, s6, s0
	s_addc_u32 s1, s7, s1
	s_cmp_eq_u32 s12, 0
	s_cselect_b32 s5, s3, s13
	s_cselect_b32 s6, s2, s0
	v_mad_u64_u32 v[3:4], null, v0, s5, v[2:3]
	v_mov_b32_e32 v4, 0
	s_cselect_b32 s5, s4, s1
	s_cselect_b32 s3, s13, s3
	;; [unrolled: 1-line block ×4, first 2 shown]
	v_lshlrev_b64 v[5:6], 2, v[3:4]
	v_add_co_u32 v5, vcc_lo, s6, v5
	v_add_co_ci_u32_e64 v6, null, s5, v6, vcc_lo
	global_load_dword v3, v[5:6], off
	s_waitcnt vmcnt(0)
	v_mad_u64_u32 v[0:1], null, v0, s3, v[2:3]
	v_mov_b32_e32 v1, v4
	v_lshlrev_b64 v[0:1], 2, v[0:1]
	v_add_co_u32 v0, vcc_lo, s0, v0
	v_add_co_ci_u32_e64 v1, null, s1, v1, vcc_lo
	global_store_dword v[0:1], v3, off
.LBB12_14:
	s_endpgm
	.section	.rodata,"a",@progbits
	.p2align	6, 0x0
	.amdhsa_kernel _ZN9rocsolver6v33100L8copy_matIfPfNS0_7no_maskEEEvNS0_17copymat_directionEiiT0_iilPT_T1_13rocblas_fill_17rocblas_diagonal_
		.amdhsa_group_segment_fixed_size 0
		.amdhsa_private_segment_fixed_size 0
		.amdhsa_kernarg_size 320
		.amdhsa_user_sgpr_count 6
		.amdhsa_user_sgpr_private_segment_buffer 1
		.amdhsa_user_sgpr_dispatch_ptr 0
		.amdhsa_user_sgpr_queue_ptr 0
		.amdhsa_user_sgpr_kernarg_segment_ptr 1
		.amdhsa_user_sgpr_dispatch_id 0
		.amdhsa_user_sgpr_flat_scratch_init 0
		.amdhsa_user_sgpr_private_segment_size 0
		.amdhsa_wavefront_size32 1
		.amdhsa_uses_dynamic_stack 0
		.amdhsa_system_sgpr_private_segment_wavefront_offset 0
		.amdhsa_system_sgpr_workgroup_id_x 1
		.amdhsa_system_sgpr_workgroup_id_y 1
		.amdhsa_system_sgpr_workgroup_id_z 1
		.amdhsa_system_sgpr_workgroup_info 0
		.amdhsa_system_vgpr_workitem_id 1
		.amdhsa_next_free_vgpr 7
		.amdhsa_next_free_sgpr 17
		.amdhsa_reserve_vcc 1
		.amdhsa_reserve_flat_scratch 0
		.amdhsa_float_round_mode_32 0
		.amdhsa_float_round_mode_16_64 0
		.amdhsa_float_denorm_mode_32 3
		.amdhsa_float_denorm_mode_16_64 3
		.amdhsa_dx10_clamp 1
		.amdhsa_ieee_mode 1
		.amdhsa_fp16_overflow 0
		.amdhsa_workgroup_processor_mode 1
		.amdhsa_memory_ordered 1
		.amdhsa_forward_progress 1
		.amdhsa_shared_vgpr_count 0
		.amdhsa_exception_fp_ieee_invalid_op 0
		.amdhsa_exception_fp_denorm_src 0
		.amdhsa_exception_fp_ieee_div_zero 0
		.amdhsa_exception_fp_ieee_overflow 0
		.amdhsa_exception_fp_ieee_underflow 0
		.amdhsa_exception_fp_ieee_inexact 0
		.amdhsa_exception_int_div_zero 0
	.end_amdhsa_kernel
	.section	.text._ZN9rocsolver6v33100L8copy_matIfPfNS0_7no_maskEEEvNS0_17copymat_directionEiiT0_iilPT_T1_13rocblas_fill_17rocblas_diagonal_,"axG",@progbits,_ZN9rocsolver6v33100L8copy_matIfPfNS0_7no_maskEEEvNS0_17copymat_directionEiiT0_iilPT_T1_13rocblas_fill_17rocblas_diagonal_,comdat
.Lfunc_end12:
	.size	_ZN9rocsolver6v33100L8copy_matIfPfNS0_7no_maskEEEvNS0_17copymat_directionEiiT0_iilPT_T1_13rocblas_fill_17rocblas_diagonal_, .Lfunc_end12-_ZN9rocsolver6v33100L8copy_matIfPfNS0_7no_maskEEEvNS0_17copymat_directionEiiT0_iilPT_T1_13rocblas_fill_17rocblas_diagonal_
                                        ; -- End function
	.set _ZN9rocsolver6v33100L8copy_matIfPfNS0_7no_maskEEEvNS0_17copymat_directionEiiT0_iilPT_T1_13rocblas_fill_17rocblas_diagonal_.num_vgpr, 7
	.set _ZN9rocsolver6v33100L8copy_matIfPfNS0_7no_maskEEEvNS0_17copymat_directionEiiT0_iilPT_T1_13rocblas_fill_17rocblas_diagonal_.num_agpr, 0
	.set _ZN9rocsolver6v33100L8copy_matIfPfNS0_7no_maskEEEvNS0_17copymat_directionEiiT0_iilPT_T1_13rocblas_fill_17rocblas_diagonal_.numbered_sgpr, 17
	.set _ZN9rocsolver6v33100L8copy_matIfPfNS0_7no_maskEEEvNS0_17copymat_directionEiiT0_iilPT_T1_13rocblas_fill_17rocblas_diagonal_.num_named_barrier, 0
	.set _ZN9rocsolver6v33100L8copy_matIfPfNS0_7no_maskEEEvNS0_17copymat_directionEiiT0_iilPT_T1_13rocblas_fill_17rocblas_diagonal_.private_seg_size, 0
	.set _ZN9rocsolver6v33100L8copy_matIfPfNS0_7no_maskEEEvNS0_17copymat_directionEiiT0_iilPT_T1_13rocblas_fill_17rocblas_diagonal_.uses_vcc, 1
	.set _ZN9rocsolver6v33100L8copy_matIfPfNS0_7no_maskEEEvNS0_17copymat_directionEiiT0_iilPT_T1_13rocblas_fill_17rocblas_diagonal_.uses_flat_scratch, 0
	.set _ZN9rocsolver6v33100L8copy_matIfPfNS0_7no_maskEEEvNS0_17copymat_directionEiiT0_iilPT_T1_13rocblas_fill_17rocblas_diagonal_.has_dyn_sized_stack, 0
	.set _ZN9rocsolver6v33100L8copy_matIfPfNS0_7no_maskEEEvNS0_17copymat_directionEiiT0_iilPT_T1_13rocblas_fill_17rocblas_diagonal_.has_recursion, 0
	.set _ZN9rocsolver6v33100L8copy_matIfPfNS0_7no_maskEEEvNS0_17copymat_directionEiiT0_iilPT_T1_13rocblas_fill_17rocblas_diagonal_.has_indirect_call, 0
	.section	.AMDGPU.csdata,"",@progbits
; Kernel info:
; codeLenInByte = 516
; TotalNumSgprs: 19
; NumVgprs: 7
; ScratchSize: 0
; MemoryBound: 0
; FloatMode: 240
; IeeeMode: 1
; LDSByteSize: 0 bytes/workgroup (compile time only)
; SGPRBlocks: 0
; VGPRBlocks: 0
; NumSGPRsForWavesPerEU: 19
; NumVGPRsForWavesPerEU: 7
; Occupancy: 16
; WaveLimiterHint : 0
; COMPUTE_PGM_RSRC2:SCRATCH_EN: 0
; COMPUTE_PGM_RSRC2:USER_SGPR: 6
; COMPUTE_PGM_RSRC2:TRAP_HANDLER: 0
; COMPUTE_PGM_RSRC2:TGID_X_EN: 1
; COMPUTE_PGM_RSRC2:TGID_Y_EN: 1
; COMPUTE_PGM_RSRC2:TGID_Z_EN: 1
; COMPUTE_PGM_RSRC2:TIDIG_COMP_CNT: 1
	.text
	.p2align	2                               ; -- Begin function __ockl_fprintf_append_string_n
	.type	__ockl_fprintf_append_string_n,@function
__ockl_fprintf_append_string_n:         ; @__ockl_fprintf_append_string_n
; %bb.0:
	s_waitcnt vmcnt(0) expcnt(0) lgkmcnt(0)
	v_mov_b32_e32 v7, v2
	v_or_b32_e32 v2, 2, v0
	v_cmp_eq_u32_e32 vcc_lo, 0, v6
	v_mov_b32_e32 v8, v3
	v_mbcnt_lo_u32_b32 v33, -1, 0
	s_mov_b32 s15, 0
	s_mov_b32 s4, exec_lo
	v_cndmask_b32_e32 v0, v2, v0, vcc_lo
	v_cmpx_ne_u64_e32 0, v[7:8]
	s_xor_b32 s14, exec_lo, s4
	s_cbranch_execz .LBB13_86
; %bb.1:
	s_load_dwordx2 s[6:7], s[8:9], 0x50
	v_and_b32_e32 v6, 2, v0
	v_mov_b32_e32 v10, 0
	v_and_b32_e32 v0, -3, v0
	v_mov_b32_e32 v11, 2
	v_mov_b32_e32 v12, 1
	s_mov_b32 s16, 0
	s_branch .LBB13_3
.LBB13_2:                               ;   in Loop: Header=BB13_3 Depth=1
	s_or_b32 exec_lo, exec_lo, s12
	v_sub_co_u32 v4, vcc_lo, v4, v29
	v_sub_co_ci_u32_e64 v5, null, v5, v30, vcc_lo
	v_add_co_u32 v7, s4, v7, v29
	v_add_co_ci_u32_e64 v8, null, v8, v30, s4
	v_cmp_eq_u64_e32 vcc_lo, 0, v[4:5]
	s_or_b32 s16, vcc_lo, s16
	s_andn2_b32 exec_lo, exec_lo, s16
	s_cbranch_execz .LBB13_85
.LBB13_3:                               ; =>This Loop Header: Depth=1
                                        ;     Child Loop BB13_6 Depth 2
                                        ;     Child Loop BB13_14 Depth 2
	;; [unrolled: 1-line block ×11, first 2 shown]
	v_cmp_gt_u64_e32 vcc_lo, 56, v[4:5]
	s_mov_b32 s5, exec_lo
	v_cndmask_b32_e32 v30, 0, v5, vcc_lo
	v_cndmask_b32_e32 v29, 56, v4, vcc_lo
	v_add_co_u32 v15, vcc_lo, v7, 8
	v_add_co_ci_u32_e64 v16, null, 0, v8, vcc_lo
	v_cmpx_gt_u64_e32 8, v[4:5]
	s_xor_b32 s5, exec_lo, s5
	s_cbranch_execz .LBB13_9
; %bb.4:                                ;   in Loop: Header=BB13_3 Depth=1
	s_waitcnt vmcnt(0)
	v_mov_b32_e32 v2, 0
	v_mov_b32_e32 v3, 0
	s_mov_b32 s12, exec_lo
	v_cmpx_ne_u64_e32 0, v[4:5]
	s_cbranch_execz .LBB13_8
; %bb.5:                                ;   in Loop: Header=BB13_3 Depth=1
	v_lshlrev_b64 v[13:14], 3, v[29:30]
	v_mov_b32_e32 v2, 0
	v_mov_b32_e32 v15, v8
	v_mov_b32_e32 v3, 0
	v_mov_b32_e32 v14, v7
	s_mov_b64 s[10:11], 0
	s_mov_b32 s13, 0
	.p2align	6
.LBB13_6:                               ;   Parent Loop BB13_3 Depth=1
                                        ; =>  This Inner Loop Header: Depth=2
	global_load_ubyte v9, v[14:15], off
	v_mov_b32_e32 v17, s15
	v_add_co_u32 v14, vcc_lo, v14, 1
	v_add_co_ci_u32_e64 v15, null, 0, v15, vcc_lo
	s_waitcnt vmcnt(0)
	v_and_b32_e32 v16, 0xffff, v9
	v_lshlrev_b64 v[16:17], s10, v[16:17]
	s_add_u32 s10, s10, 8
	s_addc_u32 s11, s11, 0
	v_cmp_eq_u32_e64 s4, s10, v13
	v_or_b32_e32 v3, v17, v3
	v_or_b32_e32 v2, v16, v2
	s_or_b32 s13, s4, s13
	s_andn2_b32 exec_lo, exec_lo, s13
	s_cbranch_execnz .LBB13_6
; %bb.7:                                ;   in Loop: Header=BB13_3 Depth=1
	s_or_b32 exec_lo, exec_lo, s13
.LBB13_8:                               ;   in Loop: Header=BB13_3 Depth=1
	s_or_b32 exec_lo, exec_lo, s12
	v_mov_b32_e32 v16, v8
	v_mov_b32_e32 v15, v7
.LBB13_9:                               ;   in Loop: Header=BB13_3 Depth=1
	s_or_saveexec_b32 s4, s5
	v_mov_b32_e32 v9, 0
	s_xor_b32 exec_lo, exec_lo, s4
	s_cbranch_execz .LBB13_11
; %bb.10:                               ;   in Loop: Header=BB13_3 Depth=1
	global_load_dwordx2 v[2:3], v[7:8], off
	v_add_nc_u32_e32 v9, -8, v29
.LBB13_11:                              ;   in Loop: Header=BB13_3 Depth=1
	s_or_b32 exec_lo, exec_lo, s4
	v_add_co_u32 v17, s4, v15, 8
	v_add_co_ci_u32_e64 v18, null, 0, v16, s4
                                        ; implicit-def: $vgpr13_vgpr14
	s_mov_b32 s4, exec_lo
	v_cmpx_gt_u32_e32 8, v9
	s_xor_b32 s12, exec_lo, s4
	s_cbranch_execz .LBB13_17
; %bb.12:                               ;   in Loop: Header=BB13_3 Depth=1
	v_mov_b32_e32 v13, 0
	v_mov_b32_e32 v14, 0
	s_mov_b32 s13, exec_lo
	v_cmpx_ne_u32_e32 0, v9
	s_cbranch_execz .LBB13_16
; %bb.13:                               ;   in Loop: Header=BB13_3 Depth=1
	v_mov_b32_e32 v13, 0
	v_mov_b32_e32 v14, 0
	s_mov_b64 s[4:5], 0
	s_mov_b32 s17, 0
	s_mov_b64 s[10:11], 0
	.p2align	6
.LBB13_14:                              ;   Parent Loop BB13_3 Depth=1
                                        ; =>  This Inner Loop Header: Depth=2
	v_add_co_u32 v17, vcc_lo, v15, s10
	v_add_co_ci_u32_e64 v18, null, s11, v16, vcc_lo
	s_add_u32 s10, s10, 1
	s_addc_u32 s11, s11, 0
	v_cmp_eq_u32_e32 vcc_lo, s10, v9
	global_load_ubyte v17, v[17:18], off
	v_mov_b32_e32 v18, s15
	s_waitcnt vmcnt(0)
	v_and_b32_e32 v17, 0xffff, v17
	v_lshlrev_b64 v[17:18], s4, v[17:18]
	s_add_u32 s4, s4, 8
	s_addc_u32 s5, s5, 0
	s_or_b32 s17, vcc_lo, s17
	v_or_b32_e32 v14, v18, v14
	v_or_b32_e32 v13, v17, v13
	s_andn2_b32 exec_lo, exec_lo, s17
	s_cbranch_execnz .LBB13_14
; %bb.15:                               ;   in Loop: Header=BB13_3 Depth=1
	s_or_b32 exec_lo, exec_lo, s17
.LBB13_16:                              ;   in Loop: Header=BB13_3 Depth=1
	s_or_b32 exec_lo, exec_lo, s13
	v_mov_b32_e32 v18, v16
	v_mov_b32_e32 v17, v15
                                        ; implicit-def: $vgpr9
.LBB13_17:                              ;   in Loop: Header=BB13_3 Depth=1
	s_or_saveexec_b32 s4, s12
	v_mov_b32_e32 v21, 0
	s_xor_b32 exec_lo, exec_lo, s4
	s_cbranch_execz .LBB13_19
; %bb.18:                               ;   in Loop: Header=BB13_3 Depth=1
	global_load_dwordx2 v[13:14], v[15:16], off
	v_add_nc_u32_e32 v21, -8, v9
.LBB13_19:                              ;   in Loop: Header=BB13_3 Depth=1
	s_or_b32 exec_lo, exec_lo, s4
	v_add_co_u32 v19, s4, v17, 8
	v_add_co_ci_u32_e64 v20, null, 0, v18, s4
	s_mov_b32 s4, exec_lo
	v_cmpx_gt_u32_e32 8, v21
	s_xor_b32 s12, exec_lo, s4
	s_cbranch_execz .LBB13_25
; %bb.20:                               ;   in Loop: Header=BB13_3 Depth=1
	v_mov_b32_e32 v15, 0
	v_mov_b32_e32 v16, 0
	s_mov_b32 s13, exec_lo
	v_cmpx_ne_u32_e32 0, v21
	s_cbranch_execz .LBB13_24
; %bb.21:                               ;   in Loop: Header=BB13_3 Depth=1
	v_mov_b32_e32 v15, 0
	v_mov_b32_e32 v16, 0
	s_mov_b64 s[4:5], 0
	s_mov_b32 s17, 0
	s_mov_b64 s[10:11], 0
	.p2align	6
.LBB13_22:                              ;   Parent Loop BB13_3 Depth=1
                                        ; =>  This Inner Loop Header: Depth=2
	v_add_co_u32 v19, vcc_lo, v17, s10
	v_add_co_ci_u32_e64 v20, null, s11, v18, vcc_lo
	s_add_u32 s10, s10, 1
	s_addc_u32 s11, s11, 0
	v_cmp_eq_u32_e32 vcc_lo, s10, v21
	global_load_ubyte v9, v[19:20], off
	v_mov_b32_e32 v20, s15
	s_waitcnt vmcnt(0)
	v_and_b32_e32 v19, 0xffff, v9
	v_lshlrev_b64 v[19:20], s4, v[19:20]
	s_add_u32 s4, s4, 8
	s_addc_u32 s5, s5, 0
	s_or_b32 s17, vcc_lo, s17
	v_or_b32_e32 v16, v20, v16
	v_or_b32_e32 v15, v19, v15
	s_andn2_b32 exec_lo, exec_lo, s17
	s_cbranch_execnz .LBB13_22
; %bb.23:                               ;   in Loop: Header=BB13_3 Depth=1
	s_or_b32 exec_lo, exec_lo, s17
.LBB13_24:                              ;   in Loop: Header=BB13_3 Depth=1
	s_or_b32 exec_lo, exec_lo, s13
	v_mov_b32_e32 v20, v18
	v_mov_b32_e32 v19, v17
                                        ; implicit-def: $vgpr21
.LBB13_25:                              ;   in Loop: Header=BB13_3 Depth=1
	s_or_saveexec_b32 s4, s12
	v_mov_b32_e32 v9, 0
	s_xor_b32 exec_lo, exec_lo, s4
	s_cbranch_execz .LBB13_27
; %bb.26:                               ;   in Loop: Header=BB13_3 Depth=1
	global_load_dwordx2 v[15:16], v[17:18], off
	v_add_nc_u32_e32 v9, -8, v21
.LBB13_27:                              ;   in Loop: Header=BB13_3 Depth=1
	s_or_b32 exec_lo, exec_lo, s4
	v_add_co_u32 v21, s4, v19, 8
	v_add_co_ci_u32_e64 v22, null, 0, v20, s4
                                        ; implicit-def: $vgpr17_vgpr18
	s_mov_b32 s4, exec_lo
	v_cmpx_gt_u32_e32 8, v9
	s_xor_b32 s12, exec_lo, s4
	s_cbranch_execz .LBB13_33
; %bb.28:                               ;   in Loop: Header=BB13_3 Depth=1
	v_mov_b32_e32 v17, 0
	v_mov_b32_e32 v18, 0
	s_mov_b32 s13, exec_lo
	v_cmpx_ne_u32_e32 0, v9
	s_cbranch_execz .LBB13_32
; %bb.29:                               ;   in Loop: Header=BB13_3 Depth=1
	v_mov_b32_e32 v17, 0
	v_mov_b32_e32 v18, 0
	s_mov_b64 s[4:5], 0
	s_mov_b32 s17, 0
	s_mov_b64 s[10:11], 0
	.p2align	6
.LBB13_30:                              ;   Parent Loop BB13_3 Depth=1
                                        ; =>  This Inner Loop Header: Depth=2
	v_add_co_u32 v21, vcc_lo, v19, s10
	v_add_co_ci_u32_e64 v22, null, s11, v20, vcc_lo
	s_add_u32 s10, s10, 1
	s_addc_u32 s11, s11, 0
	v_cmp_eq_u32_e32 vcc_lo, s10, v9
	global_load_ubyte v21, v[21:22], off
	v_mov_b32_e32 v22, s15
	s_waitcnt vmcnt(0)
	v_and_b32_e32 v21, 0xffff, v21
	v_lshlrev_b64 v[21:22], s4, v[21:22]
	s_add_u32 s4, s4, 8
	s_addc_u32 s5, s5, 0
	s_or_b32 s17, vcc_lo, s17
	v_or_b32_e32 v18, v22, v18
	v_or_b32_e32 v17, v21, v17
	s_andn2_b32 exec_lo, exec_lo, s17
	s_cbranch_execnz .LBB13_30
; %bb.31:                               ;   in Loop: Header=BB13_3 Depth=1
	s_or_b32 exec_lo, exec_lo, s17
.LBB13_32:                              ;   in Loop: Header=BB13_3 Depth=1
	s_or_b32 exec_lo, exec_lo, s13
	v_mov_b32_e32 v22, v20
	v_mov_b32_e32 v21, v19
                                        ; implicit-def: $vgpr9
.LBB13_33:                              ;   in Loop: Header=BB13_3 Depth=1
	s_or_saveexec_b32 s4, s12
	v_mov_b32_e32 v25, 0
	s_xor_b32 exec_lo, exec_lo, s4
	s_cbranch_execz .LBB13_35
; %bb.34:                               ;   in Loop: Header=BB13_3 Depth=1
	global_load_dwordx2 v[17:18], v[19:20], off
	v_add_nc_u32_e32 v25, -8, v9
.LBB13_35:                              ;   in Loop: Header=BB13_3 Depth=1
	s_or_b32 exec_lo, exec_lo, s4
	v_add_co_u32 v23, s4, v21, 8
	v_add_co_ci_u32_e64 v24, null, 0, v22, s4
	s_mov_b32 s4, exec_lo
	v_cmpx_gt_u32_e32 8, v25
	s_xor_b32 s12, exec_lo, s4
	s_cbranch_execz .LBB13_41
; %bb.36:                               ;   in Loop: Header=BB13_3 Depth=1
	v_mov_b32_e32 v19, 0
	v_mov_b32_e32 v20, 0
	s_mov_b32 s13, exec_lo
	v_cmpx_ne_u32_e32 0, v25
	s_cbranch_execz .LBB13_40
; %bb.37:                               ;   in Loop: Header=BB13_3 Depth=1
	v_mov_b32_e32 v19, 0
	v_mov_b32_e32 v20, 0
	s_mov_b64 s[4:5], 0
	s_mov_b32 s17, 0
	s_mov_b64 s[10:11], 0
	.p2align	6
.LBB13_38:                              ;   Parent Loop BB13_3 Depth=1
                                        ; =>  This Inner Loop Header: Depth=2
	v_add_co_u32 v23, vcc_lo, v21, s10
	v_add_co_ci_u32_e64 v24, null, s11, v22, vcc_lo
	s_add_u32 s10, s10, 1
	s_addc_u32 s11, s11, 0
	v_cmp_eq_u32_e32 vcc_lo, s10, v25
	global_load_ubyte v9, v[23:24], off
	v_mov_b32_e32 v24, s15
	s_waitcnt vmcnt(0)
	v_and_b32_e32 v23, 0xffff, v9
	v_lshlrev_b64 v[23:24], s4, v[23:24]
	s_add_u32 s4, s4, 8
	s_addc_u32 s5, s5, 0
	s_or_b32 s17, vcc_lo, s17
	v_or_b32_e32 v20, v24, v20
	v_or_b32_e32 v19, v23, v19
	s_andn2_b32 exec_lo, exec_lo, s17
	s_cbranch_execnz .LBB13_38
; %bb.39:                               ;   in Loop: Header=BB13_3 Depth=1
	s_or_b32 exec_lo, exec_lo, s17
.LBB13_40:                              ;   in Loop: Header=BB13_3 Depth=1
	s_or_b32 exec_lo, exec_lo, s13
	v_mov_b32_e32 v24, v22
	v_mov_b32_e32 v23, v21
                                        ; implicit-def: $vgpr25
.LBB13_41:                              ;   in Loop: Header=BB13_3 Depth=1
	s_or_saveexec_b32 s4, s12
	v_mov_b32_e32 v9, 0
	s_xor_b32 exec_lo, exec_lo, s4
	s_cbranch_execz .LBB13_43
; %bb.42:                               ;   in Loop: Header=BB13_3 Depth=1
	global_load_dwordx2 v[19:20], v[21:22], off
	v_add_nc_u32_e32 v9, -8, v25
.LBB13_43:                              ;   in Loop: Header=BB13_3 Depth=1
	s_or_b32 exec_lo, exec_lo, s4
	v_add_co_u32 v25, s4, v23, 8
	v_add_co_ci_u32_e64 v26, null, 0, v24, s4
                                        ; implicit-def: $vgpr21_vgpr22
	s_mov_b32 s4, exec_lo
	v_cmpx_gt_u32_e32 8, v9
	s_xor_b32 s12, exec_lo, s4
	s_cbranch_execz .LBB13_49
; %bb.44:                               ;   in Loop: Header=BB13_3 Depth=1
	v_mov_b32_e32 v21, 0
	v_mov_b32_e32 v22, 0
	s_mov_b32 s13, exec_lo
	v_cmpx_ne_u32_e32 0, v9
	s_cbranch_execz .LBB13_48
; %bb.45:                               ;   in Loop: Header=BB13_3 Depth=1
	v_mov_b32_e32 v21, 0
	v_mov_b32_e32 v22, 0
	s_mov_b64 s[4:5], 0
	s_mov_b32 s17, 0
	s_mov_b64 s[10:11], 0
	.p2align	6
.LBB13_46:                              ;   Parent Loop BB13_3 Depth=1
                                        ; =>  This Inner Loop Header: Depth=2
	v_add_co_u32 v25, vcc_lo, v23, s10
	v_add_co_ci_u32_e64 v26, null, s11, v24, vcc_lo
	s_add_u32 s10, s10, 1
	s_addc_u32 s11, s11, 0
	v_cmp_eq_u32_e32 vcc_lo, s10, v9
	global_load_ubyte v25, v[25:26], off
	v_mov_b32_e32 v26, s15
	s_waitcnt vmcnt(0)
	v_and_b32_e32 v25, 0xffff, v25
	v_lshlrev_b64 v[25:26], s4, v[25:26]
	s_add_u32 s4, s4, 8
	s_addc_u32 s5, s5, 0
	s_or_b32 s17, vcc_lo, s17
	v_or_b32_e32 v22, v26, v22
	v_or_b32_e32 v21, v25, v21
	s_andn2_b32 exec_lo, exec_lo, s17
	s_cbranch_execnz .LBB13_46
; %bb.47:                               ;   in Loop: Header=BB13_3 Depth=1
	s_or_b32 exec_lo, exec_lo, s17
.LBB13_48:                              ;   in Loop: Header=BB13_3 Depth=1
	s_or_b32 exec_lo, exec_lo, s13
	v_mov_b32_e32 v26, v24
	v_mov_b32_e32 v25, v23
                                        ; implicit-def: $vgpr9
.LBB13_49:                              ;   in Loop: Header=BB13_3 Depth=1
	s_or_saveexec_b32 s4, s12
	v_mov_b32_e32 v27, 0
	s_xor_b32 exec_lo, exec_lo, s4
	s_cbranch_execz .LBB13_51
; %bb.50:                               ;   in Loop: Header=BB13_3 Depth=1
	global_load_dwordx2 v[21:22], v[23:24], off
	v_add_nc_u32_e32 v27, -8, v9
.LBB13_51:                              ;   in Loop: Header=BB13_3 Depth=1
	s_or_b32 exec_lo, exec_lo, s4
	s_mov_b32 s4, exec_lo
	v_cmpx_gt_u32_e32 8, v27
	s_xor_b32 s10, exec_lo, s4
	s_cbranch_execz .LBB13_57
; %bb.52:                               ;   in Loop: Header=BB13_3 Depth=1
	v_mov_b32_e32 v23, 0
	v_mov_b32_e32 v24, 0
	s_mov_b32 s11, exec_lo
	v_cmpx_ne_u32_e32 0, v27
	s_cbranch_execz .LBB13_56
; %bb.53:                               ;   in Loop: Header=BB13_3 Depth=1
	v_mov_b32_e32 v23, 0
	v_mov_b32_e32 v24, 0
	s_mov_b64 s[4:5], 0
	s_mov_b32 s12, 0
	.p2align	6
.LBB13_54:                              ;   Parent Loop BB13_3 Depth=1
                                        ; =>  This Inner Loop Header: Depth=2
	global_load_ubyte v9, v[25:26], off
	v_mov_b32_e32 v32, s15
	v_add_nc_u32_e32 v27, -1, v27
	v_add_co_u32 v25, vcc_lo, v25, 1
	v_add_co_ci_u32_e64 v26, null, 0, v26, vcc_lo
	v_cmp_eq_u32_e32 vcc_lo, 0, v27
	s_waitcnt vmcnt(0)
	v_and_b32_e32 v31, 0xffff, v9
	v_lshlrev_b64 v[31:32], s4, v[31:32]
	s_add_u32 s4, s4, 8
	s_addc_u32 s5, s5, 0
	s_or_b32 s12, vcc_lo, s12
	v_or_b32_e32 v24, v32, v24
	v_or_b32_e32 v23, v31, v23
	s_andn2_b32 exec_lo, exec_lo, s12
	s_cbranch_execnz .LBB13_54
; %bb.55:                               ;   in Loop: Header=BB13_3 Depth=1
	s_or_b32 exec_lo, exec_lo, s12
.LBB13_56:                              ;   in Loop: Header=BB13_3 Depth=1
	s_or_b32 exec_lo, exec_lo, s11
                                        ; implicit-def: $vgpr25_vgpr26
.LBB13_57:                              ;   in Loop: Header=BB13_3 Depth=1
	s_andn2_saveexec_b32 s4, s10
	s_cbranch_execz .LBB13_59
; %bb.58:                               ;   in Loop: Header=BB13_3 Depth=1
	global_load_dwordx2 v[23:24], v[25:26], off
.LBB13_59:                              ;   in Loop: Header=BB13_3 Depth=1
	s_or_b32 exec_lo, exec_lo, s4
	v_readfirstlane_b32 s4, v33
	v_mov_b32_e32 v31, 0
	v_mov_b32_e32 v32, 0
	v_cmp_eq_u32_e64 s4, s4, v33
	s_and_saveexec_b32 s5, s4
	s_cbranch_execz .LBB13_65
; %bb.60:                               ;   in Loop: Header=BB13_3 Depth=1
	s_waitcnt lgkmcnt(0)
	global_load_dwordx2 v[27:28], v10, s[6:7] offset:24 glc dlc
	s_waitcnt vmcnt(0)
	buffer_gl1_inv
	buffer_gl0_inv
	s_clause 0x1
	global_load_dwordx2 v[25:26], v10, s[6:7] offset:40
	global_load_dwordx2 v[31:32], v10, s[6:7]
	s_mov_b32 s10, exec_lo
	s_waitcnt vmcnt(1)
	v_and_b32_e32 v9, v26, v28
	v_and_b32_e32 v25, v25, v27
	v_mul_lo_u32 v9, v9, 24
	v_mul_hi_u32 v26, v25, 24
	v_mul_lo_u32 v25, v25, 24
	v_add_nc_u32_e32 v9, v26, v9
	s_waitcnt vmcnt(0)
	v_add_co_u32 v25, vcc_lo, v31, v25
	v_add_co_ci_u32_e64 v26, null, v32, v9, vcc_lo
	global_load_dwordx2 v[25:26], v[25:26], off glc dlc
	s_waitcnt vmcnt(0)
	global_atomic_cmpswap_x2 v[31:32], v10, v[25:28], s[6:7] offset:24 glc
	s_waitcnt vmcnt(0)
	buffer_gl1_inv
	buffer_gl0_inv
	v_cmpx_ne_u64_e64 v[31:32], v[27:28]
	s_cbranch_execz .LBB13_64
; %bb.61:                               ;   in Loop: Header=BB13_3 Depth=1
	s_mov_b32 s11, 0
	.p2align	6
.LBB13_62:                              ;   Parent Loop BB13_3 Depth=1
                                        ; =>  This Inner Loop Header: Depth=2
	s_sleep 1
	s_clause 0x1
	global_load_dwordx2 v[25:26], v10, s[6:7] offset:40
	global_load_dwordx2 v[34:35], v10, s[6:7]
	v_mov_b32_e32 v27, v31
	v_mov_b32_e32 v28, v32
	s_waitcnt vmcnt(1)
	v_and_b32_e32 v9, v25, v27
	v_and_b32_e32 v25, v26, v28
	s_waitcnt vmcnt(0)
	v_mad_u64_u32 v[31:32], null, v9, 24, v[34:35]
	v_mov_b32_e32 v9, v32
	v_mad_u64_u32 v[25:26], null, v25, 24, v[9:10]
	v_mov_b32_e32 v32, v25
	global_load_dwordx2 v[25:26], v[31:32], off glc dlc
	s_waitcnt vmcnt(0)
	global_atomic_cmpswap_x2 v[31:32], v10, v[25:28], s[6:7] offset:24 glc
	s_waitcnt vmcnt(0)
	buffer_gl1_inv
	buffer_gl0_inv
	v_cmp_eq_u64_e32 vcc_lo, v[31:32], v[27:28]
	s_or_b32 s11, vcc_lo, s11
	s_andn2_b32 exec_lo, exec_lo, s11
	s_cbranch_execnz .LBB13_62
; %bb.63:                               ;   in Loop: Header=BB13_3 Depth=1
	s_or_b32 exec_lo, exec_lo, s11
.LBB13_64:                              ;   in Loop: Header=BB13_3 Depth=1
	s_or_b32 exec_lo, exec_lo, s10
.LBB13_65:                              ;   in Loop: Header=BB13_3 Depth=1
	s_or_b32 exec_lo, exec_lo, s5
	s_waitcnt lgkmcnt(0)
	s_clause 0x1
	global_load_dwordx2 v[34:35], v10, s[6:7] offset:40
	global_load_dwordx4 v[25:28], v10, s[6:7]
	v_readfirstlane_b32 s11, v32
	v_readfirstlane_b32 s10, v31
	s_mov_b32 s5, exec_lo
	s_waitcnt vmcnt(1)
	v_readfirstlane_b32 s12, v34
	v_readfirstlane_b32 s13, v35
	s_and_b64 s[12:13], s[12:13], s[10:11]
	s_mul_i32 s17, s13, 24
	s_mul_hi_u32 s18, s12, 24
	s_mul_i32 s19, s12, 24
	s_add_i32 s18, s18, s17
	s_waitcnt vmcnt(0)
	v_add_co_u32 v31, vcc_lo, v25, s19
	v_add_co_ci_u32_e64 v32, null, s18, v26, vcc_lo
	s_and_saveexec_b32 s17, s4
	s_cbranch_execz .LBB13_67
; %bb.66:                               ;   in Loop: Header=BB13_3 Depth=1
	v_mov_b32_e32 v9, s5
	global_store_dwordx4 v[31:32], v[9:12], off offset:8
.LBB13_67:                              ;   in Loop: Header=BB13_3 Depth=1
	s_or_b32 exec_lo, exec_lo, s17
	v_cmp_gt_u64_e32 vcc_lo, 57, v[4:5]
	s_lshl_b64 s[12:13], s[12:13], 12
	v_and_b32_e32 v0, 0xffffff1f, v0
	v_lshl_add_u32 v35, v29, 2, 28
	v_lshlrev_b32_e32 v34, 6, v33
	v_cndmask_b32_e32 v9, 0, v6, vcc_lo
	v_add_co_u32 v27, vcc_lo, v27, s12
	v_add_co_ci_u32_e64 v28, null, s13, v28, vcc_lo
	v_or_b32_e32 v0, v0, v9
	v_readfirstlane_b32 s12, v27
	v_readfirstlane_b32 s13, v28
	v_and_or_b32 v0, 0x1e0, v35, v0
	global_store_dwordx4 v34, v[13:16], s[12:13] offset:16
	global_store_dwordx4 v34, v[0:3], s[12:13]
	global_store_dwordx4 v34, v[17:20], s[12:13] offset:32
	global_store_dwordx4 v34, v[21:24], s[12:13] offset:48
	s_and_saveexec_b32 s5, s4
	s_cbranch_execz .LBB13_75
; %bb.68:                               ;   in Loop: Header=BB13_3 Depth=1
	s_clause 0x1
	global_load_dwordx2 v[17:18], v10, s[6:7] offset:32 glc dlc
	global_load_dwordx2 v[0:1], v10, s[6:7] offset:40
	v_mov_b32_e32 v15, s10
	v_mov_b32_e32 v16, s11
	s_waitcnt vmcnt(0)
	v_readfirstlane_b32 s12, v0
	v_readfirstlane_b32 s13, v1
	s_and_b64 s[12:13], s[12:13], s[10:11]
	s_mul_i32 s13, s13, 24
	s_mul_hi_u32 s17, s12, 24
	s_mul_i32 s12, s12, 24
	s_add_i32 s17, s17, s13
	v_add_co_u32 v13, vcc_lo, v25, s12
	v_add_co_ci_u32_e64 v14, null, s17, v26, vcc_lo
	s_mov_b32 s12, exec_lo
	global_store_dwordx2 v[13:14], v[17:18], off
	s_waitcnt_vscnt null, 0x0
	global_atomic_cmpswap_x2 v[2:3], v10, v[15:18], s[6:7] offset:32 glc
	s_waitcnt vmcnt(0)
	v_cmpx_ne_u64_e64 v[2:3], v[17:18]
	s_cbranch_execz .LBB13_71
; %bb.69:                               ;   in Loop: Header=BB13_3 Depth=1
	s_mov_b32 s13, 0
.LBB13_70:                              ;   Parent Loop BB13_3 Depth=1
                                        ; =>  This Inner Loop Header: Depth=2
	v_mov_b32_e32 v0, s10
	v_mov_b32_e32 v1, s11
	s_sleep 1
	global_store_dwordx2 v[13:14], v[2:3], off
	s_waitcnt_vscnt null, 0x0
	global_atomic_cmpswap_x2 v[0:1], v10, v[0:3], s[6:7] offset:32 glc
	s_waitcnt vmcnt(0)
	v_cmp_eq_u64_e32 vcc_lo, v[0:1], v[2:3]
	v_mov_b32_e32 v3, v1
	v_mov_b32_e32 v2, v0
	s_or_b32 s13, vcc_lo, s13
	s_andn2_b32 exec_lo, exec_lo, s13
	s_cbranch_execnz .LBB13_70
.LBB13_71:                              ;   in Loop: Header=BB13_3 Depth=1
	s_or_b32 exec_lo, exec_lo, s12
	global_load_dwordx2 v[0:1], v10, s[6:7] offset:16
	s_mov_b32 s13, exec_lo
	s_mov_b32 s12, exec_lo
	v_mbcnt_lo_u32_b32 v2, s13, 0
	v_cmpx_eq_u32_e32 0, v2
	s_cbranch_execz .LBB13_73
; %bb.72:                               ;   in Loop: Header=BB13_3 Depth=1
	s_bcnt1_i32_b32 s13, s13
	v_mov_b32_e32 v9, s13
	s_waitcnt vmcnt(0)
	global_atomic_add_x2 v[0:1], v[9:10], off offset:8
.LBB13_73:                              ;   in Loop: Header=BB13_3 Depth=1
	s_or_b32 exec_lo, exec_lo, s12
	s_waitcnt vmcnt(0)
	global_load_dwordx2 v[2:3], v[0:1], off offset:16
	s_waitcnt vmcnt(0)
	v_cmp_eq_u64_e32 vcc_lo, 0, v[2:3]
	s_cbranch_vccnz .LBB13_75
; %bb.74:                               ;   in Loop: Header=BB13_3 Depth=1
	global_load_dword v9, v[0:1], off offset:24
	s_waitcnt vmcnt(0)
	v_readfirstlane_b32 s12, v9
	s_waitcnt_vscnt null, 0x0
	global_store_dwordx2 v[2:3], v[9:10], off
	s_and_b32 m0, s12, 0x7fffff
	s_sendmsg sendmsg(MSG_INTERRUPT)
.LBB13_75:                              ;   in Loop: Header=BB13_3 Depth=1
	s_or_b32 exec_lo, exec_lo, s5
	v_add_co_u32 v0, vcc_lo, v27, v34
	v_add_co_ci_u32_e64 v1, null, 0, v28, vcc_lo
	s_branch .LBB13_79
	.p2align	6
.LBB13_76:                              ;   in Loop: Header=BB13_79 Depth=2
	s_or_b32 exec_lo, exec_lo, s5
	v_readfirstlane_b32 s5, v2
	s_cmp_eq_u32 s5, 0
	s_cbranch_scc1 .LBB13_78
; %bb.77:                               ;   in Loop: Header=BB13_79 Depth=2
	s_sleep 1
	s_cbranch_execnz .LBB13_79
	s_branch .LBB13_81
	.p2align	6
.LBB13_78:                              ;   in Loop: Header=BB13_3 Depth=1
	s_branch .LBB13_81
.LBB13_79:                              ;   Parent Loop BB13_3 Depth=1
                                        ; =>  This Inner Loop Header: Depth=2
	v_mov_b32_e32 v2, 1
	s_and_saveexec_b32 s5, s4
	s_cbranch_execz .LBB13_76
; %bb.80:                               ;   in Loop: Header=BB13_79 Depth=2
	global_load_dword v2, v[31:32], off offset:20 glc dlc
	s_waitcnt vmcnt(0)
	buffer_gl1_inv
	buffer_gl0_inv
	v_and_b32_e32 v2, 1, v2
	s_branch .LBB13_76
.LBB13_81:                              ;   in Loop: Header=BB13_3 Depth=1
	global_load_dwordx4 v[0:3], v[0:1], off
	s_and_saveexec_b32 s12, s4
	s_cbranch_execz .LBB13_2
; %bb.82:                               ;   in Loop: Header=BB13_3 Depth=1
	s_clause 0x2
	global_load_dwordx2 v[2:3], v10, s[6:7] offset:40
	global_load_dwordx2 v[17:18], v10, s[6:7] offset:24 glc dlc
	global_load_dwordx2 v[13:14], v10, s[6:7]
	s_waitcnt vmcnt(2)
	v_readfirstlane_b32 s18, v2
	v_readfirstlane_b32 s19, v3
	s_add_u32 s13, s18, 1
	s_addc_u32 s17, s19, 0
	s_add_u32 s4, s13, s10
	s_addc_u32 s5, s17, s11
	s_cmp_eq_u64 s[4:5], 0
	s_cselect_b32 s5, s17, s5
	s_cselect_b32 s4, s13, s4
	v_mov_b32_e32 v16, s5
	s_and_b64 s[10:11], s[4:5], s[18:19]
	v_mov_b32_e32 v15, s4
	s_mul_i32 s11, s11, 24
	s_mul_hi_u32 s13, s10, 24
	s_mul_i32 s10, s10, 24
	s_add_i32 s13, s13, s11
	s_waitcnt vmcnt(0)
	v_add_co_u32 v2, vcc_lo, v13, s10
	v_add_co_ci_u32_e64 v3, null, s13, v14, vcc_lo
	global_store_dwordx2 v[2:3], v[17:18], off
	s_waitcnt_vscnt null, 0x0
	global_atomic_cmpswap_x2 v[15:16], v10, v[15:18], s[6:7] offset:24 glc
	s_waitcnt vmcnt(0)
	v_cmp_ne_u64_e32 vcc_lo, v[15:16], v[17:18]
	s_and_b32 exec_lo, exec_lo, vcc_lo
	s_cbranch_execz .LBB13_2
; %bb.83:                               ;   in Loop: Header=BB13_3 Depth=1
	s_mov_b32 s10, 0
.LBB13_84:                              ;   Parent Loop BB13_3 Depth=1
                                        ; =>  This Inner Loop Header: Depth=2
	v_mov_b32_e32 v13, s4
	v_mov_b32_e32 v14, s5
	s_sleep 1
	global_store_dwordx2 v[2:3], v[15:16], off
	s_waitcnt_vscnt null, 0x0
	global_atomic_cmpswap_x2 v[13:14], v10, v[13:16], s[6:7] offset:24 glc
	s_waitcnt vmcnt(0)
	v_cmp_eq_u64_e32 vcc_lo, v[13:14], v[15:16]
	v_mov_b32_e32 v16, v14
	v_mov_b32_e32 v15, v13
	s_or_b32 s10, vcc_lo, s10
	s_andn2_b32 exec_lo, exec_lo, s10
	s_cbranch_execnz .LBB13_84
	s_branch .LBB13_2
.LBB13_85:
	s_or_b32 exec_lo, exec_lo, s16
                                        ; implicit-def: $vgpr0
                                        ; implicit-def: $vgpr33
                                        ; implicit-def: $vgpr1
.LBB13_86:
	s_andn2_saveexec_b32 s12, s14
	s_cbranch_execz .LBB13_109
; %bb.87:
	s_load_dwordx2 s[6:7], s[8:9], 0x50
	v_readfirstlane_b32 s4, v33
	v_mov_b32_e32 v8, 0
	v_mov_b32_e32 v9, 0
	v_cmp_eq_u32_e64 s4, s4, v33
	s_and_saveexec_b32 s5, s4
	s_cbranch_execz .LBB13_93
; %bb.88:
	s_waitcnt vmcnt(0)
	v_mov_b32_e32 v2, 0
	s_mov_b32 s8, exec_lo
	s_waitcnt lgkmcnt(0)
	global_load_dwordx2 v[5:6], v2, s[6:7] offset:24 glc dlc
	s_waitcnt vmcnt(0)
	buffer_gl1_inv
	buffer_gl0_inv
	s_clause 0x1
	global_load_dwordx2 v[3:4], v2, s[6:7] offset:40
	global_load_dwordx2 v[7:8], v2, s[6:7]
	s_waitcnt vmcnt(1)
	v_and_b32_e32 v4, v4, v6
	v_and_b32_e32 v3, v3, v5
	v_mul_lo_u32 v4, v4, 24
	v_mul_hi_u32 v9, v3, 24
	v_mul_lo_u32 v3, v3, 24
	v_add_nc_u32_e32 v4, v9, v4
	s_waitcnt vmcnt(0)
	v_add_co_u32 v3, vcc_lo, v7, v3
	v_add_co_ci_u32_e64 v4, null, v8, v4, vcc_lo
	global_load_dwordx2 v[3:4], v[3:4], off glc dlc
	s_waitcnt vmcnt(0)
	global_atomic_cmpswap_x2 v[8:9], v2, v[3:6], s[6:7] offset:24 glc
	s_waitcnt vmcnt(0)
	buffer_gl1_inv
	buffer_gl0_inv
	v_cmpx_ne_u64_e64 v[8:9], v[5:6]
	s_cbranch_execz .LBB13_92
; %bb.89:
	s_mov_b32 s9, 0
	.p2align	6
.LBB13_90:                              ; =>This Inner Loop Header: Depth=1
	s_sleep 1
	s_clause 0x1
	global_load_dwordx2 v[3:4], v2, s[6:7] offset:40
	global_load_dwordx2 v[10:11], v2, s[6:7]
	v_mov_b32_e32 v5, v8
	v_mov_b32_e32 v6, v9
	s_waitcnt vmcnt(1)
	v_and_b32_e32 v3, v3, v5
	v_and_b32_e32 v4, v4, v6
	s_waitcnt vmcnt(0)
	v_mad_u64_u32 v[7:8], null, v3, 24, v[10:11]
	v_mov_b32_e32 v3, v8
	v_mad_u64_u32 v[3:4], null, v4, 24, v[3:4]
	v_mov_b32_e32 v8, v3
	global_load_dwordx2 v[3:4], v[7:8], off glc dlc
	s_waitcnt vmcnt(0)
	global_atomic_cmpswap_x2 v[8:9], v2, v[3:6], s[6:7] offset:24 glc
	s_waitcnt vmcnt(0)
	buffer_gl1_inv
	buffer_gl0_inv
	v_cmp_eq_u64_e32 vcc_lo, v[8:9], v[5:6]
	s_or_b32 s9, vcc_lo, s9
	s_andn2_b32 exec_lo, exec_lo, s9
	s_cbranch_execnz .LBB13_90
; %bb.91:
	s_or_b32 exec_lo, exec_lo, s9
.LBB13_92:
	s_or_b32 exec_lo, exec_lo, s8
.LBB13_93:
	s_or_b32 exec_lo, exec_lo, s5
	s_waitcnt vmcnt(0)
	v_mov_b32_e32 v2, 0
	v_readfirstlane_b32 s9, v9
	v_readfirstlane_b32 s8, v8
	s_mov_b32 s5, exec_lo
	s_waitcnt lgkmcnt(0)
	s_clause 0x1
	global_load_dwordx2 v[10:11], v2, s[6:7] offset:40
	global_load_dwordx4 v[4:7], v2, s[6:7]
	s_waitcnt vmcnt(1)
	v_readfirstlane_b32 s10, v10
	v_readfirstlane_b32 s11, v11
	s_and_b64 s[10:11], s[10:11], s[8:9]
	s_mul_i32 s13, s11, 24
	s_mul_hi_u32 s14, s10, 24
	s_mul_i32 s15, s10, 24
	s_add_i32 s14, s14, s13
	s_waitcnt vmcnt(0)
	v_add_co_u32 v8, vcc_lo, v4, s15
	v_add_co_ci_u32_e64 v9, null, s14, v5, vcc_lo
	s_and_saveexec_b32 s13, s4
	s_cbranch_execz .LBB13_95
; %bb.94:
	v_mov_b32_e32 v10, s5
	v_mov_b32_e32 v11, v2
	;; [unrolled: 1-line block ×4, first 2 shown]
	global_store_dwordx4 v[8:9], v[10:13], off offset:8
.LBB13_95:
	s_or_b32 exec_lo, exec_lo, s13
	s_lshl_b64 s[10:11], s[10:11], 12
	s_mov_b32 s16, 0
	v_add_co_u32 v6, vcc_lo, v6, s10
	v_add_co_ci_u32_e64 v7, null, s11, v7, vcc_lo
	s_mov_b32 s17, s16
	s_mov_b32 s18, s16
	;; [unrolled: 1-line block ×3, first 2 shown]
	v_and_or_b32 v0, 0xffffff1f, v0, 32
	v_lshlrev_b32_e32 v14, 6, v33
	v_mov_b32_e32 v3, v2
	v_readfirstlane_b32 s10, v6
	v_readfirstlane_b32 s11, v7
	v_mov_b32_e32 v10, s16
	v_mov_b32_e32 v11, s17
	;; [unrolled: 1-line block ×4, first 2 shown]
	global_store_dwordx4 v14, v[0:3], s[10:11]
	global_store_dwordx4 v14, v[10:13], s[10:11] offset:16
	global_store_dwordx4 v14, v[10:13], s[10:11] offset:32
	;; [unrolled: 1-line block ×3, first 2 shown]
	s_and_saveexec_b32 s5, s4
	s_cbranch_execz .LBB13_103
; %bb.96:
	v_mov_b32_e32 v6, 0
	v_mov_b32_e32 v10, s8
	;; [unrolled: 1-line block ×3, first 2 shown]
	s_mov_b32 s10, exec_lo
	s_clause 0x1
	global_load_dwordx2 v[12:13], v6, s[6:7] offset:32 glc dlc
	global_load_dwordx2 v[0:1], v6, s[6:7] offset:40
	s_waitcnt vmcnt(0)
	v_and_b32_e32 v1, s9, v1
	v_and_b32_e32 v0, s8, v0
	v_mul_lo_u32 v1, v1, 24
	v_mul_hi_u32 v2, v0, 24
	v_mul_lo_u32 v0, v0, 24
	v_add_nc_u32_e32 v1, v2, v1
	v_add_co_u32 v4, vcc_lo, v4, v0
	v_add_co_ci_u32_e64 v5, null, v5, v1, vcc_lo
	global_store_dwordx2 v[4:5], v[12:13], off
	s_waitcnt_vscnt null, 0x0
	global_atomic_cmpswap_x2 v[2:3], v6, v[10:13], s[6:7] offset:32 glc
	s_waitcnt vmcnt(0)
	v_cmpx_ne_u64_e64 v[2:3], v[12:13]
	s_cbranch_execz .LBB13_99
; %bb.97:
	s_mov_b32 s11, 0
.LBB13_98:                              ; =>This Inner Loop Header: Depth=1
	v_mov_b32_e32 v0, s8
	v_mov_b32_e32 v1, s9
	s_sleep 1
	global_store_dwordx2 v[4:5], v[2:3], off
	s_waitcnt_vscnt null, 0x0
	global_atomic_cmpswap_x2 v[0:1], v6, v[0:3], s[6:7] offset:32 glc
	s_waitcnt vmcnt(0)
	v_cmp_eq_u64_e32 vcc_lo, v[0:1], v[2:3]
	v_mov_b32_e32 v3, v1
	v_mov_b32_e32 v2, v0
	s_or_b32 s11, vcc_lo, s11
	s_andn2_b32 exec_lo, exec_lo, s11
	s_cbranch_execnz .LBB13_98
.LBB13_99:
	s_or_b32 exec_lo, exec_lo, s10
	v_mov_b32_e32 v3, 0
	s_mov_b32 s11, exec_lo
	s_mov_b32 s10, exec_lo
	v_mbcnt_lo_u32_b32 v2, s11, 0
	global_load_dwordx2 v[0:1], v3, s[6:7] offset:16
	v_cmpx_eq_u32_e32 0, v2
	s_cbranch_execz .LBB13_101
; %bb.100:
	s_bcnt1_i32_b32 s11, s11
	v_mov_b32_e32 v2, s11
	s_waitcnt vmcnt(0)
	global_atomic_add_x2 v[0:1], v[2:3], off offset:8
.LBB13_101:
	s_or_b32 exec_lo, exec_lo, s10
	s_waitcnt vmcnt(0)
	global_load_dwordx2 v[2:3], v[0:1], off offset:16
	s_waitcnt vmcnt(0)
	v_cmp_eq_u64_e32 vcc_lo, 0, v[2:3]
	s_cbranch_vccnz .LBB13_103
; %bb.102:
	global_load_dword v0, v[0:1], off offset:24
	v_mov_b32_e32 v1, 0
	s_waitcnt vmcnt(0)
	v_readfirstlane_b32 s10, v0
	s_waitcnt_vscnt null, 0x0
	global_store_dwordx2 v[2:3], v[0:1], off
	s_and_b32 m0, s10, 0x7fffff
	s_sendmsg sendmsg(MSG_INTERRUPT)
.LBB13_103:
	s_or_b32 exec_lo, exec_lo, s5
	s_branch .LBB13_107
	.p2align	6
.LBB13_104:                             ;   in Loop: Header=BB13_107 Depth=1
	s_or_b32 exec_lo, exec_lo, s5
	v_readfirstlane_b32 s5, v0
	s_cmp_eq_u32 s5, 0
	s_cbranch_scc1 .LBB13_106
; %bb.105:                              ;   in Loop: Header=BB13_107 Depth=1
	s_sleep 1
	s_cbranch_execnz .LBB13_107
	s_branch .LBB13_110
	.p2align	6
.LBB13_106:
	s_branch .LBB13_110
.LBB13_107:                             ; =>This Inner Loop Header: Depth=1
	v_mov_b32_e32 v0, 1
	s_and_saveexec_b32 s5, s4
	s_cbranch_execz .LBB13_104
; %bb.108:                              ;   in Loop: Header=BB13_107 Depth=1
	global_load_dword v0, v[8:9], off offset:20 glc dlc
	s_waitcnt vmcnt(0)
	buffer_gl1_inv
	buffer_gl0_inv
	v_and_b32_e32 v0, 1, v0
	s_branch .LBB13_104
.LBB13_109:
	s_or_b32 exec_lo, exec_lo, s12
	s_waitcnt vmcnt(0) lgkmcnt(0)
	s_setpc_b64 s[30:31]
.LBB13_110:
	s_and_saveexec_b32 s10, s4
	s_cbranch_execz .LBB13_114
; %bb.111:
	v_mov_b32_e32 v6, 0
	s_clause 0x2
	global_load_dwordx2 v[0:1], v6, s[6:7] offset:40
	global_load_dwordx2 v[9:10], v6, s[6:7] offset:24 glc dlc
	global_load_dwordx2 v[2:3], v6, s[6:7]
	s_waitcnt vmcnt(2)
	v_readfirstlane_b32 s14, v0
	v_readfirstlane_b32 s15, v1
	s_add_u32 s11, s14, 1
	s_addc_u32 s13, s15, 0
	s_add_u32 s4, s11, s8
	s_addc_u32 s5, s13, s9
	s_cmp_eq_u64 s[4:5], 0
	s_cselect_b32 s5, s13, s5
	s_cselect_b32 s4, s11, s4
	v_mov_b32_e32 v8, s5
	s_and_b64 s[8:9], s[4:5], s[14:15]
	v_mov_b32_e32 v7, s4
	s_mul_i32 s9, s9, 24
	s_mul_hi_u32 s11, s8, 24
	s_mul_i32 s8, s8, 24
	s_add_i32 s11, s11, s9
	s_waitcnt vmcnt(0)
	v_add_co_u32 v4, vcc_lo, v2, s8
	v_add_co_ci_u32_e64 v5, null, s11, v3, vcc_lo
	global_store_dwordx2 v[4:5], v[9:10], off
	s_waitcnt_vscnt null, 0x0
	global_atomic_cmpswap_x2 v[2:3], v6, v[7:10], s[6:7] offset:24 glc
	s_waitcnt vmcnt(0)
	v_cmp_ne_u64_e32 vcc_lo, v[2:3], v[9:10]
	s_and_b32 exec_lo, exec_lo, vcc_lo
	s_cbranch_execz .LBB13_114
; %bb.112:
	s_mov_b32 s8, 0
.LBB13_113:                             ; =>This Inner Loop Header: Depth=1
	v_mov_b32_e32 v0, s4
	v_mov_b32_e32 v1, s5
	s_sleep 1
	global_store_dwordx2 v[4:5], v[2:3], off
	s_waitcnt_vscnt null, 0x0
	global_atomic_cmpswap_x2 v[0:1], v6, v[0:3], s[6:7] offset:24 glc
	s_waitcnt vmcnt(0)
	v_cmp_eq_u64_e32 vcc_lo, v[0:1], v[2:3]
	v_mov_b32_e32 v3, v1
	v_mov_b32_e32 v2, v0
	s_or_b32 s8, vcc_lo, s8
	s_andn2_b32 exec_lo, exec_lo, s8
	s_cbranch_execnz .LBB13_113
.LBB13_114:
	s_or_b32 exec_lo, exec_lo, s10
	s_or_b32 exec_lo, exec_lo, s12
	s_waitcnt lgkmcnt(0)
	s_setpc_b64 s[30:31]
.Lfunc_end13:
	.size	__ockl_fprintf_append_string_n, .Lfunc_end13-__ockl_fprintf_append_string_n
                                        ; -- End function
	.set .L__ockl_fprintf_append_string_n.num_vgpr, 36
	.set .L__ockl_fprintf_append_string_n.num_agpr, 0
	.set .L__ockl_fprintf_append_string_n.numbered_sgpr, 32
	.set .L__ockl_fprintf_append_string_n.num_named_barrier, 0
	.set .L__ockl_fprintf_append_string_n.private_seg_size, 0
	.set .L__ockl_fprintf_append_string_n.uses_vcc, 1
	.set .L__ockl_fprintf_append_string_n.uses_flat_scratch, 0
	.set .L__ockl_fprintf_append_string_n.has_dyn_sized_stack, 0
	.set .L__ockl_fprintf_append_string_n.has_recursion, 0
	.set .L__ockl_fprintf_append_string_n.has_indirect_call, 0
	.section	.AMDGPU.csdata,"",@progbits
; Function info:
; codeLenInByte = 4532
; TotalNumSgprs: 34
; NumVgprs: 36
; ScratchSize: 0
; MemoryBound: 0
	.text
	.p2align	2                               ; -- Begin function __assert_fail
	.type	__assert_fail,@function
__assert_fail:                          ; @__assert_fail
; %bb.0:
	s_waitcnt vmcnt(0) expcnt(0) lgkmcnt(0)
	s_mov_b32 s24, s33
	s_mov_b32 s33, s32
	s_or_saveexec_b32 s4, -1
	buffer_store_dword v40, off, s[0:3], s33 offset:48 ; 4-byte Folded Spill
	s_mov_b32 exec_lo, s4
	v_writelane_b32 v40, s30, 0
	s_addk_i32 s32, 0x800
	v_writelane_b32 v40, s31, 1
	v_mov_b32_e32 v6, v3
	v_mov_b32_e32 v3, 0
	s_getpc_b64 s[4:5]
	s_add_u32 s4, s4, __const.__assert_fail.fmt@rel32@lo+35
	s_addc_u32 s5, s5, __const.__assert_fail.fmt@rel32@hi+43
	v_mbcnt_lo_u32_b32 v36, -1, 0
	v_mov_b32_e32 v9, v1
	v_mov_b32_e32 v8, v0
	global_load_dwordx4 v[10:13], v3, s[4:5]
	s_getpc_b64 s[4:5]
	s_add_u32 s4, s4, __const.__assert_fail.fmt@rel32@lo+4
	s_addc_u32 s5, s5, __const.__assert_fail.fmt@rel32@hi+12
	s_getpc_b64 s[6:7]
	s_add_u32 s6, s6, __const.__assert_fail.fmt@rel32@lo+20
	s_addc_u32 s7, s7, __const.__assert_fail.fmt@rel32@hi+28
	s_clause 0x1
	s_load_dwordx4 s[12:15], s[4:5], 0x0
	s_load_dwordx4 s[16:19], s[6:7], 0x0
	s_load_dwordx2 s[6:7], s[8:9], 0x50
	v_readfirstlane_b32 s4, v36
	v_mov_b32_e32 v0, 0
	v_mov_b32_e32 v7, v4
	;; [unrolled: 1-line block ×3, first 2 shown]
	v_cmp_eq_u32_e64 s4, s4, v36
	s_waitcnt lgkmcnt(0)
	v_mov_b32_e32 v4, s15
	v_mov_b32_e32 v5, s14
	;; [unrolled: 1-line block ×8, first 2 shown]
	buffer_store_dword v4, off, s[0:3], s33 offset:12
	buffer_store_dword v5, off, s[0:3], s33 offset:8
	;; [unrolled: 1-line block ×3, first 2 shown]
	buffer_store_dword v15, off, s[0:3], s33
	buffer_store_dword v16, off, s[0:3], s33 offset:28
	buffer_store_dword v17, off, s[0:3], s33 offset:24
	buffer_store_dword v18, off, s[0:3], s33 offset:20
	buffer_store_dword v19, off, s[0:3], s33 offset:16
	s_waitcnt vmcnt(0)
	buffer_store_dword v13, off, s[0:3], s33 offset:43
	buffer_store_dword v12, off, s[0:3], s33 offset:39
	;; [unrolled: 1-line block ×4, first 2 shown]
	s_and_saveexec_b32 s5, s4
	s_cbranch_execz .LBB14_6
; %bb.1:
	global_load_dwordx2 v[12:13], v3, s[6:7] offset:24 glc dlc
	s_waitcnt vmcnt(0)
	buffer_gl1_inv
	buffer_gl0_inv
	s_clause 0x1
	global_load_dwordx2 v[0:1], v3, s[6:7] offset:40
	global_load_dwordx2 v[4:5], v3, s[6:7]
	s_mov_b32 s10, exec_lo
	s_waitcnt vmcnt(1)
	v_and_b32_e32 v1, v1, v13
	v_and_b32_e32 v0, v0, v12
	v_mul_lo_u32 v1, v1, 24
	v_mul_hi_u32 v10, v0, 24
	v_mul_lo_u32 v0, v0, 24
	v_add_nc_u32_e32 v1, v10, v1
	s_waitcnt vmcnt(0)
	v_add_co_u32 v0, vcc_lo, v4, v0
	v_add_co_ci_u32_e64 v1, null, v5, v1, vcc_lo
	global_load_dwordx2 v[10:11], v[0:1], off glc dlc
	s_waitcnt vmcnt(0)
	global_atomic_cmpswap_x2 v[0:1], v3, v[10:13], s[6:7] offset:24 glc
	s_waitcnt vmcnt(0)
	buffer_gl1_inv
	buffer_gl0_inv
	v_cmpx_ne_u64_e64 v[0:1], v[12:13]
	s_cbranch_execz .LBB14_5
; %bb.2:
	v_mov_b32_e32 v4, 0
	s_mov_b32 s11, 0
	.p2align	6
.LBB14_3:                               ; =>This Inner Loop Header: Depth=1
	s_sleep 1
	s_clause 0x1
	global_load_dwordx2 v[10:11], v4, s[6:7] offset:40
	global_load_dwordx2 v[14:15], v4, s[6:7]
	v_mov_b32_e32 v13, v1
	v_mov_b32_e32 v12, v0
	s_waitcnt vmcnt(1)
	v_and_b32_e32 v0, v10, v12
	v_and_b32_e32 v5, v11, v13
	s_waitcnt vmcnt(0)
	v_mad_u64_u32 v[0:1], null, v0, 24, v[14:15]
	v_mad_u64_u32 v[10:11], null, v5, 24, v[1:2]
	v_mov_b32_e32 v1, v10
	global_load_dwordx2 v[10:11], v[0:1], off glc dlc
	s_waitcnt vmcnt(0)
	global_atomic_cmpswap_x2 v[0:1], v4, v[10:13], s[6:7] offset:24 glc
	s_waitcnt vmcnt(0)
	buffer_gl1_inv
	buffer_gl0_inv
	v_cmp_eq_u64_e32 vcc_lo, v[0:1], v[12:13]
	s_or_b32 s11, vcc_lo, s11
	s_andn2_b32 exec_lo, exec_lo, s11
	s_cbranch_execnz .LBB14_3
; %bb.4:
	s_or_b32 exec_lo, exec_lo, s11
.LBB14_5:
	s_or_b32 exec_lo, exec_lo, s10
.LBB14_6:
	s_or_b32 exec_lo, exec_lo, s5
	s_clause 0x1
	global_load_dwordx2 v[4:5], v3, s[6:7] offset:40
	global_load_dwordx4 v[10:13], v3, s[6:7]
	v_readfirstlane_b32 s11, v1
	v_readfirstlane_b32 s10, v0
	s_mov_b32 s5, exec_lo
	s_waitcnt vmcnt(1)
	v_readfirstlane_b32 s12, v4
	v_readfirstlane_b32 s13, v5
	s_and_b64 s[12:13], s[12:13], s[10:11]
	s_mul_i32 s14, s13, 24
	s_mul_hi_u32 s15, s12, 24
	s_mul_i32 s16, s12, 24
	s_add_i32 s15, s15, s14
	s_waitcnt vmcnt(0)
	v_add_co_u32 v0, vcc_lo, v10, s16
	v_add_co_ci_u32_e64 v1, null, s15, v11, vcc_lo
	s_and_saveexec_b32 s14, s4
	s_cbranch_execz .LBB14_8
; %bb.7:
	v_mov_b32_e32 v14, s5
	v_mov_b32_e32 v15, 0
	;; [unrolled: 1-line block ×4, first 2 shown]
	global_store_dwordx4 v[0:1], v[14:17], off offset:8
.LBB14_8:
	s_or_b32 exec_lo, exec_lo, s14
	s_lshl_b64 s[12:13], s[12:13], 12
	v_lshlrev_b32_e32 v37, 6, v36
	v_add_co_u32 v3, vcc_lo, v12, s12
	v_add_co_ci_u32_e64 v4, null, s13, v13, vcc_lo
	v_mov_b32_e32 v13, 0
	s_mov_b32 s12, 0
	v_readfirstlane_b32 s16, v3
	s_mov_b32 s15, s12
	v_add_co_u32 v3, vcc_lo, v3, v37
	s_mov_b32 s13, s12
	s_mov_b32 s14, s12
	v_mov_b32_e32 v12, 33
	v_mov_b32_e32 v14, 1
	;; [unrolled: 1-line block ×3, first 2 shown]
	v_readfirstlane_b32 s17, v4
	v_mov_b32_e32 v19, s15
	v_add_co_ci_u32_e64 v4, null, 0, v4, vcc_lo
	v_mov_b32_e32 v18, s14
	v_mov_b32_e32 v17, s13
	;; [unrolled: 1-line block ×3, first 2 shown]
	global_store_dwordx4 v37, v[12:15], s[16:17]
	global_store_dwordx4 v37, v[16:19], s[16:17] offset:16
	global_store_dwordx4 v37, v[16:19], s[16:17] offset:32
	;; [unrolled: 1-line block ×3, first 2 shown]
	s_and_saveexec_b32 s5, s4
	s_cbranch_execz .LBB14_16
; %bb.9:
	s_clause 0x1
	global_load_dwordx2 v[18:19], v13, s[6:7] offset:32 glc dlc
	global_load_dwordx2 v[14:15], v13, s[6:7] offset:40
	v_mov_b32_e32 v16, s10
	v_mov_b32_e32 v17, s11
	s_mov_b32 s12, exec_lo
	s_waitcnt vmcnt(0)
	v_and_b32_e32 v5, s11, v15
	v_and_b32_e32 v12, s10, v14
	v_mul_lo_u32 v5, v5, 24
	v_mul_hi_u32 v14, v12, 24
	v_mul_lo_u32 v12, v12, 24
	v_add_nc_u32_e32 v5, v14, v5
	v_add_co_u32 v14, vcc_lo, v10, v12
	v_add_co_ci_u32_e64 v15, null, v11, v5, vcc_lo
	global_store_dwordx2 v[14:15], v[18:19], off
	s_waitcnt_vscnt null, 0x0
	global_atomic_cmpswap_x2 v[12:13], v13, v[16:19], s[6:7] offset:32 glc
	s_waitcnt vmcnt(0)
	v_cmpx_ne_u64_e64 v[12:13], v[18:19]
	s_cbranch_execz .LBB14_12
; %bb.10:
	v_mov_b32_e32 v5, 0
	s_mov_b32 s13, 0
.LBB14_11:                              ; =>This Inner Loop Header: Depth=1
	v_mov_b32_e32 v10, s10
	v_mov_b32_e32 v11, s11
	s_sleep 1
	global_store_dwordx2 v[14:15], v[12:13], off
	s_waitcnt_vscnt null, 0x0
	global_atomic_cmpswap_x2 v[10:11], v5, v[10:13], s[6:7] offset:32 glc
	s_waitcnt vmcnt(0)
	v_cmp_eq_u64_e32 vcc_lo, v[10:11], v[12:13]
	v_mov_b32_e32 v13, v11
	v_mov_b32_e32 v12, v10
	s_or_b32 s13, vcc_lo, s13
	s_andn2_b32 exec_lo, exec_lo, s13
	s_cbranch_execnz .LBB14_11
.LBB14_12:
	s_or_b32 exec_lo, exec_lo, s12
	v_mov_b32_e32 v13, 0
	s_mov_b32 s13, exec_lo
	s_mov_b32 s12, exec_lo
	v_mbcnt_lo_u32_b32 v5, s13, 0
	global_load_dwordx2 v[10:11], v13, s[6:7] offset:16
	v_cmpx_eq_u32_e32 0, v5
	s_cbranch_execz .LBB14_14
; %bb.13:
	s_bcnt1_i32_b32 s13, s13
	v_mov_b32_e32 v12, s13
	s_waitcnt vmcnt(0)
	global_atomic_add_x2 v[10:11], v[12:13], off offset:8
.LBB14_14:
	s_or_b32 exec_lo, exec_lo, s12
	s_waitcnt vmcnt(0)
	global_load_dwordx2 v[12:13], v[10:11], off offset:16
	s_waitcnt vmcnt(0)
	v_cmp_eq_u64_e32 vcc_lo, 0, v[12:13]
	s_cbranch_vccnz .LBB14_16
; %bb.15:
	global_load_dword v10, v[10:11], off offset:24
	v_mov_b32_e32 v11, 0
	s_waitcnt vmcnt(0)
	v_readfirstlane_b32 s12, v10
	s_waitcnt_vscnt null, 0x0
	global_store_dwordx2 v[12:13], v[10:11], off
	s_and_b32 m0, s12, 0x7fffff
	s_sendmsg sendmsg(MSG_INTERRUPT)
.LBB14_16:
	s_or_b32 exec_lo, exec_lo, s5
	s_branch .LBB14_20
	.p2align	6
.LBB14_17:                              ;   in Loop: Header=BB14_20 Depth=1
	s_or_b32 exec_lo, exec_lo, s5
	v_readfirstlane_b32 s5, v5
	s_cmp_eq_u32 s5, 0
	s_cbranch_scc1 .LBB14_19
; %bb.18:                               ;   in Loop: Header=BB14_20 Depth=1
	s_sleep 1
	s_cbranch_execnz .LBB14_20
	s_branch .LBB14_22
	.p2align	6
.LBB14_19:
	s_branch .LBB14_22
.LBB14_20:                              ; =>This Inner Loop Header: Depth=1
	v_mov_b32_e32 v5, 1
	s_and_saveexec_b32 s5, s4
	s_cbranch_execz .LBB14_17
; %bb.21:                               ;   in Loop: Header=BB14_20 Depth=1
	global_load_dword v5, v[0:1], off offset:20 glc dlc
	s_waitcnt vmcnt(0)
	buffer_gl1_inv
	buffer_gl0_inv
	v_and_b32_e32 v5, 1, v5
	s_branch .LBB14_17
.LBB14_22:
	global_load_dwordx2 v[14:15], v[3:4], off
	s_and_saveexec_b32 s12, s4
	s_cbranch_execz .LBB14_26
; %bb.23:
	v_mov_b32_e32 v3, 0
	s_clause 0x2
	global_load_dwordx2 v[0:1], v3, s[6:7] offset:40
	global_load_dwordx2 v[18:19], v3, s[6:7] offset:24 glc dlc
	global_load_dwordx2 v[4:5], v3, s[6:7]
	s_waitcnt vmcnt(2)
	v_readfirstlane_b32 s14, v0
	v_readfirstlane_b32 s15, v1
	s_add_u32 s13, s14, 1
	s_addc_u32 s16, s15, 0
	s_add_u32 s4, s13, s10
	s_addc_u32 s5, s16, s11
	s_cmp_eq_u64 s[4:5], 0
	s_cselect_b32 s5, s16, s5
	s_cselect_b32 s4, s13, s4
	v_mov_b32_e32 v17, s5
	s_and_b64 s[10:11], s[4:5], s[14:15]
	v_mov_b32_e32 v16, s4
	s_mul_i32 s11, s11, 24
	s_mul_hi_u32 s13, s10, 24
	s_mul_i32 s10, s10, 24
	s_add_i32 s13, s13, s11
	s_waitcnt vmcnt(0)
	v_add_co_u32 v0, vcc_lo, v4, s10
	v_add_co_ci_u32_e64 v1, null, s13, v5, vcc_lo
	global_store_dwordx2 v[0:1], v[18:19], off
	s_waitcnt_vscnt null, 0x0
	global_atomic_cmpswap_x2 v[12:13], v3, v[16:19], s[6:7] offset:24 glc
	s_waitcnt vmcnt(0)
	v_cmp_ne_u64_e32 vcc_lo, v[12:13], v[18:19]
	s_and_b32 exec_lo, exec_lo, vcc_lo
	s_cbranch_execz .LBB14_26
; %bb.24:
	s_mov_b32 s10, 0
.LBB14_25:                              ; =>This Inner Loop Header: Depth=1
	v_mov_b32_e32 v10, s4
	v_mov_b32_e32 v11, s5
	s_sleep 1
	global_store_dwordx2 v[0:1], v[12:13], off
	s_waitcnt_vscnt null, 0x0
	global_atomic_cmpswap_x2 v[4:5], v3, v[10:13], s[6:7] offset:24 glc
	s_waitcnt vmcnt(0)
	v_cmp_eq_u64_e32 vcc_lo, v[4:5], v[12:13]
	v_mov_b32_e32 v13, v5
	v_mov_b32_e32 v12, v4
	s_or_b32 s10, vcc_lo, s10
	s_andn2_b32 exec_lo, exec_lo, s10
	s_cbranch_execnz .LBB14_25
.LBB14_26:
	s_or_b32 exec_lo, exec_lo, s12
	s_lshr_b32 s5, s33, 5
	s_mov_b32 s4, 0
.LBB14_27:                              ; =>This Inner Loop Header: Depth=1
	v_mov_b32_e32 v0, s5
	s_add_i32 s5, s5, 1
	buffer_load_ubyte v0, v0, s[0:3], 0 offen
	s_waitcnt vmcnt(0)
	v_cmp_eq_u16_e32 vcc_lo, 0, v0
	v_mov_b32_e32 v0, s5
	s_or_b32 s4, vcc_lo, s4
	s_andn2_b32 exec_lo, exec_lo, s4
	s_cbranch_execnz .LBB14_27
; %bb.28:
	s_or_b32 exec_lo, exec_lo, s4
	s_lshr_b32 s4, s33, 5
	s_cmp_lg_u32 s4, -1
	s_cbranch_scc0 .LBB14_113
; %bb.29:
	v_lshrrev_b32_e64 v1, 5, s33
	v_and_b32_e32 v5, 2, v14
	v_mov_b32_e32 v17, 0
	v_and_b32_e32 v10, -3, v14
	v_mov_b32_e32 v11, v15
	v_subrev_nc_u32_e32 v0, v1, v0
	v_lshrrev_b32_e64 v38, 5, s33
	v_mov_b32_e32 v18, 2
	v_mov_b32_e32 v19, 1
	s_mov_b32 s15, 0
	v_ashrrev_i32_e32 v1, 31, v0
	s_mov_b32 s14, 0
	s_branch .LBB14_31
.LBB14_30:                              ;   in Loop: Header=BB14_31 Depth=1
	s_or_b32 exec_lo, exec_lo, s12
	v_sub_co_u32 v0, vcc_lo, v0, v39
	v_sub_co_ci_u32_e64 v1, null, v1, v34, vcc_lo
	v_add_nc_u32_e32 v38, v38, v39
	v_cmp_eq_u64_e32 vcc_lo, 0, v[0:1]
	s_or_b32 s14, vcc_lo, s14
	s_andn2_b32 exec_lo, exec_lo, s14
	s_cbranch_execz .LBB14_114
.LBB14_31:                              ; =>This Loop Header: Depth=1
                                        ;     Child Loop BB14_34 Depth 2
                                        ;     Child Loop BB14_42 Depth 2
	;; [unrolled: 1-line block ×11, first 2 shown]
	v_cmp_gt_u64_e32 vcc_lo, 56, v[0:1]
	v_add_nc_u32_e32 v4, 8, v38
	s_mov_b32 s5, exec_lo
	v_cndmask_b32_e32 v39, 56, v0, vcc_lo
	v_cmpx_gt_u64_e32 8, v[0:1]
	s_xor_b32 s5, exec_lo, s5
	s_cbranch_execz .LBB14_37
; %bb.32:                               ;   in Loop: Header=BB14_31 Depth=1
	v_mov_b32_e32 v12, 0
	v_mov_b32_e32 v13, 0
	s_mov_b32 s12, exec_lo
	v_cmpx_ne_u64_e32 0, v[0:1]
	s_cbranch_execz .LBB14_36
; %bb.33:                               ;   in Loop: Header=BB14_31 Depth=1
	v_mov_b32_e32 v12, 0
	v_mov_b32_e32 v13, 0
	s_mov_b64 s[10:11], 0
	s_mov_b32 s13, 0
	s_mov_b32 s16, 0
	.p2align	6
.LBB14_34:                              ;   Parent Loop BB14_31 Depth=1
                                        ; =>  This Inner Loop Header: Depth=2
	v_add_nc_u32_e32 v3, s16, v38
	v_mov_b32_e32 v4, s15
	s_add_i32 s16, s16, 1
	v_cmp_eq_u32_e64 s4, s16, v39
	buffer_load_ubyte v3, v3, s[0:3], 0 offen
	s_waitcnt vmcnt(0)
	v_and_b32_e32 v3, 0xffff, v3
	v_lshlrev_b64 v[3:4], s10, v[3:4]
	s_add_u32 s10, s10, 8
	s_addc_u32 s11, s11, 0
	s_or_b32 s13, s4, s13
	v_or_b32_e32 v13, v4, v13
	v_or_b32_e32 v12, v3, v12
	s_andn2_b32 exec_lo, exec_lo, s13
	s_cbranch_execnz .LBB14_34
; %bb.35:                               ;   in Loop: Header=BB14_31 Depth=1
	s_or_b32 exec_lo, exec_lo, s13
.LBB14_36:                              ;   in Loop: Header=BB14_31 Depth=1
	s_or_b32 exec_lo, exec_lo, s12
	v_mov_b32_e32 v4, v38
.LBB14_37:                              ;   in Loop: Header=BB14_31 Depth=1
	s_or_saveexec_b32 s4, s5
	v_mov_b32_e32 v16, 0
	s_xor_b32 exec_lo, exec_lo, s4
	s_cbranch_execz .LBB14_39
; %bb.38:                               ;   in Loop: Header=BB14_31 Depth=1
	s_clause 0x1
	buffer_load_dword v12, v38, s[0:3], 0 offen
	buffer_load_dword v13, v38, s[0:3], 0 offen offset:4
	v_add_nc_u32_e32 v16, -8, v39
.LBB14_39:                              ;   in Loop: Header=BB14_31 Depth=1
	s_or_b32 exec_lo, exec_lo, s4
	v_add_nc_u32_e32 v3, 8, v4
	s_mov_b32 s5, exec_lo
                                        ; implicit-def: $vgpr20_vgpr21
	v_cmpx_gt_u32_e32 8, v16
	s_xor_b32 s5, exec_lo, s5
	s_cbranch_execz .LBB14_45
; %bb.40:                               ;   in Loop: Header=BB14_31 Depth=1
	v_mov_b32_e32 v20, 0
	v_mov_b32_e32 v21, 0
	s_mov_b32 s12, exec_lo
	v_cmpx_ne_u32_e32 0, v16
	s_cbranch_execz .LBB14_44
; %bb.41:                               ;   in Loop: Header=BB14_31 Depth=1
	v_mov_b32_e32 v20, 0
	v_mov_b32_e32 v21, 0
	s_mov_b64 s[10:11], 0
	s_mov_b32 s13, 0
	s_mov_b32 s16, 0
	.p2align	6
.LBB14_42:                              ;   Parent Loop BB14_31 Depth=1
                                        ; =>  This Inner Loop Header: Depth=2
	v_add_nc_u32_e32 v3, s16, v4
	v_mov_b32_e32 v23, s15
	s_add_i32 s16, s16, 1
	v_cmp_eq_u32_e64 s4, s16, v16
	buffer_load_ubyte v3, v3, s[0:3], 0 offen
	s_waitcnt vmcnt(0)
	v_and_b32_e32 v22, 0xffff, v3
	v_lshlrev_b64 v[22:23], s10, v[22:23]
	s_add_u32 s10, s10, 8
	s_addc_u32 s11, s11, 0
	s_or_b32 s13, s4, s13
	v_or_b32_e32 v21, v23, v21
	v_or_b32_e32 v20, v22, v20
	s_andn2_b32 exec_lo, exec_lo, s13
	s_cbranch_execnz .LBB14_42
; %bb.43:                               ;   in Loop: Header=BB14_31 Depth=1
	s_or_b32 exec_lo, exec_lo, s13
.LBB14_44:                              ;   in Loop: Header=BB14_31 Depth=1
	s_or_b32 exec_lo, exec_lo, s12
	v_mov_b32_e32 v3, v4
                                        ; implicit-def: $vgpr16
.LBB14_45:                              ;   in Loop: Header=BB14_31 Depth=1
	s_or_saveexec_b32 s4, s5
	v_mov_b32_e32 v24, 0
	s_xor_b32 exec_lo, exec_lo, s4
	s_cbranch_execz .LBB14_47
; %bb.46:                               ;   in Loop: Header=BB14_31 Depth=1
	s_clause 0x1
	buffer_load_dword v20, v4, s[0:3], 0 offen
	buffer_load_dword v21, v4, s[0:3], 0 offen offset:4
	v_add_nc_u32_e32 v24, -8, v16
.LBB14_47:                              ;   in Loop: Header=BB14_31 Depth=1
	s_or_b32 exec_lo, exec_lo, s4
	v_add_nc_u32_e32 v4, 8, v3
	s_mov_b32 s5, exec_lo
	v_cmpx_gt_u32_e32 8, v24
	s_xor_b32 s5, exec_lo, s5
	s_cbranch_execz .LBB14_53
; %bb.48:                               ;   in Loop: Header=BB14_31 Depth=1
	v_mov_b32_e32 v22, 0
	v_mov_b32_e32 v23, 0
	s_mov_b32 s12, exec_lo
	v_cmpx_ne_u32_e32 0, v24
	s_cbranch_execz .LBB14_52
; %bb.49:                               ;   in Loop: Header=BB14_31 Depth=1
	v_mov_b32_e32 v22, 0
	v_mov_b32_e32 v23, 0
	s_mov_b64 s[10:11], 0
	s_mov_b32 s13, 0
	s_mov_b32 s16, 0
	.p2align	6
.LBB14_50:                              ;   Parent Loop BB14_31 Depth=1
                                        ; =>  This Inner Loop Header: Depth=2
	v_add_nc_u32_e32 v4, s16, v3
	v_mov_b32_e32 v26, s15
	s_add_i32 s16, s16, 1
	v_cmp_eq_u32_e64 s4, s16, v24
	buffer_load_ubyte v4, v4, s[0:3], 0 offen
	s_waitcnt vmcnt(0)
	v_and_b32_e32 v25, 0xffff, v4
	v_lshlrev_b64 v[25:26], s10, v[25:26]
	s_add_u32 s10, s10, 8
	s_addc_u32 s11, s11, 0
	s_or_b32 s13, s4, s13
	v_or_b32_e32 v23, v26, v23
	v_or_b32_e32 v22, v25, v22
	s_andn2_b32 exec_lo, exec_lo, s13
	s_cbranch_execnz .LBB14_50
; %bb.51:                               ;   in Loop: Header=BB14_31 Depth=1
	s_or_b32 exec_lo, exec_lo, s13
.LBB14_52:                              ;   in Loop: Header=BB14_31 Depth=1
	s_or_b32 exec_lo, exec_lo, s12
	v_mov_b32_e32 v4, v3
                                        ; implicit-def: $vgpr24
.LBB14_53:                              ;   in Loop: Header=BB14_31 Depth=1
	s_or_saveexec_b32 s4, s5
	v_mov_b32_e32 v16, 0
	s_xor_b32 exec_lo, exec_lo, s4
	s_cbranch_execz .LBB14_55
; %bb.54:                               ;   in Loop: Header=BB14_31 Depth=1
	s_clause 0x1
	buffer_load_dword v22, v3, s[0:3], 0 offen
	buffer_load_dword v23, v3, s[0:3], 0 offen offset:4
	v_add_nc_u32_e32 v16, -8, v24
.LBB14_55:                              ;   in Loop: Header=BB14_31 Depth=1
	s_or_b32 exec_lo, exec_lo, s4
	v_add_nc_u32_e32 v3, 8, v4
	s_mov_b32 s5, exec_lo
                                        ; implicit-def: $vgpr24_vgpr25
	v_cmpx_gt_u32_e32 8, v16
	s_xor_b32 s5, exec_lo, s5
	s_cbranch_execz .LBB14_61
; %bb.56:                               ;   in Loop: Header=BB14_31 Depth=1
	v_mov_b32_e32 v24, 0
	v_mov_b32_e32 v25, 0
	s_mov_b32 s12, exec_lo
	v_cmpx_ne_u32_e32 0, v16
	s_cbranch_execz .LBB14_60
; %bb.57:                               ;   in Loop: Header=BB14_31 Depth=1
	v_mov_b32_e32 v24, 0
	v_mov_b32_e32 v25, 0
	s_mov_b64 s[10:11], 0
	s_mov_b32 s13, 0
	s_mov_b32 s16, 0
	.p2align	6
.LBB14_58:                              ;   Parent Loop BB14_31 Depth=1
                                        ; =>  This Inner Loop Header: Depth=2
	v_add_nc_u32_e32 v3, s16, v4
	v_mov_b32_e32 v27, s15
	s_add_i32 s16, s16, 1
	v_cmp_eq_u32_e64 s4, s16, v16
	buffer_load_ubyte v3, v3, s[0:3], 0 offen
	s_waitcnt vmcnt(0)
	v_and_b32_e32 v26, 0xffff, v3
	v_lshlrev_b64 v[26:27], s10, v[26:27]
	s_add_u32 s10, s10, 8
	s_addc_u32 s11, s11, 0
	s_or_b32 s13, s4, s13
	v_or_b32_e32 v25, v27, v25
	v_or_b32_e32 v24, v26, v24
	s_andn2_b32 exec_lo, exec_lo, s13
	s_cbranch_execnz .LBB14_58
; %bb.59:                               ;   in Loop: Header=BB14_31 Depth=1
	s_or_b32 exec_lo, exec_lo, s13
.LBB14_60:                              ;   in Loop: Header=BB14_31 Depth=1
	s_or_b32 exec_lo, exec_lo, s12
	v_mov_b32_e32 v3, v4
                                        ; implicit-def: $vgpr16
.LBB14_61:                              ;   in Loop: Header=BB14_31 Depth=1
	s_or_saveexec_b32 s4, s5
	v_mov_b32_e32 v28, 0
	s_xor_b32 exec_lo, exec_lo, s4
	s_cbranch_execz .LBB14_63
; %bb.62:                               ;   in Loop: Header=BB14_31 Depth=1
	s_clause 0x1
	buffer_load_dword v24, v4, s[0:3], 0 offen
	buffer_load_dword v25, v4, s[0:3], 0 offen offset:4
	v_add_nc_u32_e32 v28, -8, v16
.LBB14_63:                              ;   in Loop: Header=BB14_31 Depth=1
	s_or_b32 exec_lo, exec_lo, s4
	v_add_nc_u32_e32 v4, 8, v3
	s_mov_b32 s5, exec_lo
	v_cmpx_gt_u32_e32 8, v28
	s_xor_b32 s5, exec_lo, s5
	s_cbranch_execz .LBB14_69
; %bb.64:                               ;   in Loop: Header=BB14_31 Depth=1
	v_mov_b32_e32 v26, 0
	v_mov_b32_e32 v27, 0
	s_mov_b32 s12, exec_lo
	v_cmpx_ne_u32_e32 0, v28
	s_cbranch_execz .LBB14_68
; %bb.65:                               ;   in Loop: Header=BB14_31 Depth=1
	v_mov_b32_e32 v26, 0
	v_mov_b32_e32 v27, 0
	s_mov_b64 s[10:11], 0
	s_mov_b32 s13, 0
	s_mov_b32 s16, 0
	.p2align	6
.LBB14_66:                              ;   Parent Loop BB14_31 Depth=1
                                        ; =>  This Inner Loop Header: Depth=2
	v_add_nc_u32_e32 v4, s16, v3
	v_mov_b32_e32 v30, s15
	s_add_i32 s16, s16, 1
	v_cmp_eq_u32_e64 s4, s16, v28
	buffer_load_ubyte v4, v4, s[0:3], 0 offen
	s_waitcnt vmcnt(0)
	v_and_b32_e32 v29, 0xffff, v4
	v_lshlrev_b64 v[29:30], s10, v[29:30]
	s_add_u32 s10, s10, 8
	s_addc_u32 s11, s11, 0
	s_or_b32 s13, s4, s13
	v_or_b32_e32 v27, v30, v27
	v_or_b32_e32 v26, v29, v26
	s_andn2_b32 exec_lo, exec_lo, s13
	s_cbranch_execnz .LBB14_66
; %bb.67:                               ;   in Loop: Header=BB14_31 Depth=1
	s_or_b32 exec_lo, exec_lo, s13
.LBB14_68:                              ;   in Loop: Header=BB14_31 Depth=1
	s_or_b32 exec_lo, exec_lo, s12
	v_mov_b32_e32 v4, v3
                                        ; implicit-def: $vgpr28
.LBB14_69:                              ;   in Loop: Header=BB14_31 Depth=1
	s_or_saveexec_b32 s4, s5
	v_mov_b32_e32 v16, 0
	s_xor_b32 exec_lo, exec_lo, s4
	s_cbranch_execz .LBB14_71
; %bb.70:                               ;   in Loop: Header=BB14_31 Depth=1
	s_clause 0x1
	buffer_load_dword v26, v3, s[0:3], 0 offen
	buffer_load_dword v27, v3, s[0:3], 0 offen offset:4
	v_add_nc_u32_e32 v16, -8, v28
.LBB14_71:                              ;   in Loop: Header=BB14_31 Depth=1
	s_or_b32 exec_lo, exec_lo, s4
	v_add_nc_u32_e32 v3, 8, v4
	s_mov_b32 s5, exec_lo
                                        ; implicit-def: $vgpr28_vgpr29
	v_cmpx_gt_u32_e32 8, v16
	s_xor_b32 s5, exec_lo, s5
	s_cbranch_execz .LBB14_77
; %bb.72:                               ;   in Loop: Header=BB14_31 Depth=1
	v_mov_b32_e32 v28, 0
	v_mov_b32_e32 v29, 0
	s_mov_b32 s12, exec_lo
	v_cmpx_ne_u32_e32 0, v16
	s_cbranch_execz .LBB14_76
; %bb.73:                               ;   in Loop: Header=BB14_31 Depth=1
	v_mov_b32_e32 v28, 0
	v_mov_b32_e32 v29, 0
	s_mov_b64 s[10:11], 0
	s_mov_b32 s13, 0
	s_mov_b32 s16, 0
	.p2align	6
.LBB14_74:                              ;   Parent Loop BB14_31 Depth=1
                                        ; =>  This Inner Loop Header: Depth=2
	v_add_nc_u32_e32 v3, s16, v4
	v_mov_b32_e32 v31, s15
	s_add_i32 s16, s16, 1
	v_cmp_eq_u32_e64 s4, s16, v16
	buffer_load_ubyte v3, v3, s[0:3], 0 offen
	s_waitcnt vmcnt(0)
	v_and_b32_e32 v30, 0xffff, v3
	v_lshlrev_b64 v[30:31], s10, v[30:31]
	s_add_u32 s10, s10, 8
	s_addc_u32 s11, s11, 0
	s_or_b32 s13, s4, s13
	v_or_b32_e32 v29, v31, v29
	v_or_b32_e32 v28, v30, v28
	s_andn2_b32 exec_lo, exec_lo, s13
	s_cbranch_execnz .LBB14_74
; %bb.75:                               ;   in Loop: Header=BB14_31 Depth=1
	s_or_b32 exec_lo, exec_lo, s13
.LBB14_76:                              ;   in Loop: Header=BB14_31 Depth=1
	s_or_b32 exec_lo, exec_lo, s12
	v_mov_b32_e32 v3, v4
                                        ; implicit-def: $vgpr16
.LBB14_77:                              ;   in Loop: Header=BB14_31 Depth=1
	s_or_saveexec_b32 s4, s5
	v_mov_b32_e32 v32, 0
	s_xor_b32 exec_lo, exec_lo, s4
	s_cbranch_execz .LBB14_79
; %bb.78:                               ;   in Loop: Header=BB14_31 Depth=1
	s_clause 0x1
	buffer_load_dword v28, v4, s[0:3], 0 offen
	buffer_load_dword v29, v4, s[0:3], 0 offen offset:4
	v_add_nc_u32_e32 v32, -8, v16
.LBB14_79:                              ;   in Loop: Header=BB14_31 Depth=1
	s_or_b32 exec_lo, exec_lo, s4
	s_mov_b32 s5, exec_lo
	v_cmpx_gt_u32_e32 8, v32
	s_xor_b32 s5, exec_lo, s5
	s_cbranch_execz .LBB14_85
; %bb.80:                               ;   in Loop: Header=BB14_31 Depth=1
	v_mov_b32_e32 v30, 0
	v_mov_b32_e32 v31, 0
	s_mov_b32 s12, exec_lo
	v_cmpx_ne_u32_e32 0, v32
	s_cbranch_execz .LBB14_84
; %bb.81:                               ;   in Loop: Header=BB14_31 Depth=1
	v_mov_b32_e32 v30, 0
	v_mov_b32_e32 v31, 0
	s_mov_b64 s[10:11], 0
	s_mov_b32 s13, 0
	.p2align	6
.LBB14_82:                              ;   Parent Loop BB14_31 Depth=1
                                        ; =>  This Inner Loop Header: Depth=2
	buffer_load_ubyte v4, v3, s[0:3], 0 offen
	v_mov_b32_e32 v34, s15
	v_add_nc_u32_e32 v32, -1, v32
	v_add_nc_u32_e32 v3, 1, v3
	v_cmp_eq_u32_e64 s4, 0, v32
	s_waitcnt vmcnt(0)
	v_and_b32_e32 v33, 0xffff, v4
	v_lshlrev_b64 v[33:34], s10, v[33:34]
	s_add_u32 s10, s10, 8
	s_addc_u32 s11, s11, 0
	s_or_b32 s13, s4, s13
	v_or_b32_e32 v31, v34, v31
	v_or_b32_e32 v30, v33, v30
	s_andn2_b32 exec_lo, exec_lo, s13
	s_cbranch_execnz .LBB14_82
; %bb.83:                               ;   in Loop: Header=BB14_31 Depth=1
	s_or_b32 exec_lo, exec_lo, s13
.LBB14_84:                              ;   in Loop: Header=BB14_31 Depth=1
	s_or_b32 exec_lo, exec_lo, s12
                                        ; implicit-def: $vgpr3
.LBB14_85:                              ;   in Loop: Header=BB14_31 Depth=1
	s_andn2_saveexec_b32 s4, s5
	s_cbranch_execz .LBB14_87
; %bb.86:                               ;   in Loop: Header=BB14_31 Depth=1
	s_clause 0x1
	buffer_load_dword v30, v3, s[0:3], 0 offen
	buffer_load_dword v31, v3, s[0:3], 0 offen offset:4
.LBB14_87:                              ;   in Loop: Header=BB14_31 Depth=1
	s_or_b32 exec_lo, exec_lo, s4
	v_readfirstlane_b32 s4, v36
	v_mov_b32_e32 v3, 0
	v_mov_b32_e32 v4, 0
	v_cmp_eq_u32_e64 s4, s4, v36
	s_and_saveexec_b32 s10, s4
	s_cbranch_execz .LBB14_93
; %bb.88:                               ;   in Loop: Header=BB14_31 Depth=1
	global_load_dwordx2 v[34:35], v17, s[6:7] offset:24 glc dlc
	s_waitcnt vmcnt(0)
	buffer_gl1_inv
	buffer_gl0_inv
	s_clause 0x1
	global_load_dwordx2 v[3:4], v17, s[6:7] offset:40
	global_load_dwordx2 v[32:33], v17, s[6:7]
	s_mov_b32 s11, exec_lo
	s_waitcnt vmcnt(1)
	v_and_b32_e32 v4, v4, v35
	v_and_b32_e32 v3, v3, v34
	v_mul_lo_u32 v4, v4, 24
	v_mul_hi_u32 v16, v3, 24
	v_mul_lo_u32 v3, v3, 24
	v_add_nc_u32_e32 v4, v16, v4
	s_waitcnt vmcnt(0)
	v_add_co_u32 v3, s5, v32, v3
	v_add_co_ci_u32_e64 v4, null, v33, v4, s5
	global_load_dwordx2 v[32:33], v[3:4], off glc dlc
	s_waitcnt vmcnt(0)
	global_atomic_cmpswap_x2 v[3:4], v17, v[32:35], s[6:7] offset:24 glc
	s_waitcnt vmcnt(0)
	buffer_gl1_inv
	buffer_gl0_inv
	v_cmpx_ne_u64_e64 v[3:4], v[34:35]
	s_cbranch_execz .LBB14_92
; %bb.89:                               ;   in Loop: Header=BB14_31 Depth=1
	s_mov_b32 s12, 0
	.p2align	6
.LBB14_90:                              ;   Parent Loop BB14_31 Depth=1
                                        ; =>  This Inner Loop Header: Depth=2
	s_sleep 1
	s_clause 0x1
	global_load_dwordx2 v[32:33], v17, s[6:7] offset:40
	global_load_dwordx2 v[48:49], v17, s[6:7]
	v_mov_b32_e32 v35, v4
	v_mov_b32_e32 v34, v3
	s_waitcnt vmcnt(1)
	v_and_b32_e32 v3, v32, v34
	v_and_b32_e32 v16, v33, v35
	s_waitcnt vmcnt(0)
	v_mad_u64_u32 v[3:4], null, v3, 24, v[48:49]
	v_mad_u64_u32 v[32:33], null, v16, 24, v[4:5]
	v_mov_b32_e32 v4, v32
	global_load_dwordx2 v[32:33], v[3:4], off glc dlc
	s_waitcnt vmcnt(0)
	global_atomic_cmpswap_x2 v[3:4], v17, v[32:35], s[6:7] offset:24 glc
	s_waitcnt vmcnt(0)
	buffer_gl1_inv
	buffer_gl0_inv
	v_cmp_eq_u64_e64 s5, v[3:4], v[34:35]
	s_or_b32 s12, s5, s12
	s_andn2_b32 exec_lo, exec_lo, s12
	s_cbranch_execnz .LBB14_90
; %bb.91:                               ;   in Loop: Header=BB14_31 Depth=1
	s_or_b32 exec_lo, exec_lo, s12
.LBB14_92:                              ;   in Loop: Header=BB14_31 Depth=1
	s_or_b32 exec_lo, exec_lo, s11
.LBB14_93:                              ;   in Loop: Header=BB14_31 Depth=1
	s_or_b32 exec_lo, exec_lo, s10
	s_clause 0x1
	global_load_dwordx2 v[48:49], v17, s[6:7] offset:40
	global_load_dwordx4 v[32:35], v17, s[6:7]
	v_readfirstlane_b32 s11, v4
	v_readfirstlane_b32 s10, v3
	s_mov_b32 s16, exec_lo
	s_waitcnt vmcnt(1)
	v_readfirstlane_b32 s12, v48
	v_readfirstlane_b32 s13, v49
	s_and_b64 s[12:13], s[12:13], s[10:11]
	s_mul_i32 s5, s13, 24
	s_mul_hi_u32 s17, s12, 24
	s_mul_i32 s18, s12, 24
	s_add_i32 s17, s17, s5
	s_waitcnt vmcnt(0)
	v_add_co_u32 v3, s5, v32, s18
	v_add_co_ci_u32_e64 v4, null, s17, v33, s5
	s_and_saveexec_b32 s5, s4
	s_cbranch_execz .LBB14_95
; %bb.94:                               ;   in Loop: Header=BB14_31 Depth=1
	v_mov_b32_e32 v16, s16
	global_store_dwordx4 v[3:4], v[16:19], off offset:8
.LBB14_95:                              ;   in Loop: Header=BB14_31 Depth=1
	s_or_b32 exec_lo, exec_lo, s5
	v_cmp_gt_u64_e64 s5, 57, v[0:1]
	v_and_b32_e32 v10, 0xffffff1f, v10
	s_lshl_b64 s[12:13], s[12:13], 12
	v_cndmask_b32_e64 v16, 0, v5, s5
	v_add_co_u32 v48, s5, v34, s12
	v_add_co_ci_u32_e64 v35, null, s13, v35, s5
	v_lshl_add_u32 v34, v39, 2, 28
	v_or_b32_e32 v10, v10, v16
	v_readfirstlane_b32 s12, v48
	v_readfirstlane_b32 s13, v35
	v_and_or_b32 v10, 0x1e0, v34, v10
	v_cndmask_b32_e32 v34, 0, v1, vcc_lo
	global_store_dwordx4 v37, v[20:23], s[12:13] offset:16
	global_store_dwordx4 v37, v[10:13], s[12:13]
	global_store_dwordx4 v37, v[24:27], s[12:13] offset:32
	global_store_dwordx4 v37, v[28:31], s[12:13] offset:48
	s_and_saveexec_b32 s5, s4
	s_cbranch_execz .LBB14_103
; %bb.96:                               ;   in Loop: Header=BB14_31 Depth=1
	s_clause 0x1
	global_load_dwordx2 v[24:25], v17, s[6:7] offset:32 glc dlc
	global_load_dwordx2 v[10:11], v17, s[6:7] offset:40
	v_mov_b32_e32 v22, s10
	v_mov_b32_e32 v23, s11
	s_waitcnt vmcnt(0)
	v_readfirstlane_b32 s12, v10
	v_readfirstlane_b32 s13, v11
	s_and_b64 s[12:13], s[12:13], s[10:11]
	s_mul_i32 s13, s13, 24
	s_mul_hi_u32 s16, s12, 24
	s_mul_i32 s12, s12, 24
	s_add_i32 s16, s16, s13
	v_add_co_u32 v20, vcc_lo, v32, s12
	v_add_co_ci_u32_e64 v21, null, s16, v33, vcc_lo
	s_mov_b32 s12, exec_lo
	global_store_dwordx2 v[20:21], v[24:25], off
	s_waitcnt_vscnt null, 0x0
	global_atomic_cmpswap_x2 v[12:13], v17, v[22:25], s[6:7] offset:32 glc
	s_waitcnt vmcnt(0)
	v_cmpx_ne_u64_e64 v[12:13], v[24:25]
	s_cbranch_execz .LBB14_99
; %bb.97:                               ;   in Loop: Header=BB14_31 Depth=1
	s_mov_b32 s13, 0
.LBB14_98:                              ;   Parent Loop BB14_31 Depth=1
                                        ; =>  This Inner Loop Header: Depth=2
	v_mov_b32_e32 v10, s10
	v_mov_b32_e32 v11, s11
	s_sleep 1
	global_store_dwordx2 v[20:21], v[12:13], off
	s_waitcnt_vscnt null, 0x0
	global_atomic_cmpswap_x2 v[10:11], v17, v[10:13], s[6:7] offset:32 glc
	s_waitcnt vmcnt(0)
	v_cmp_eq_u64_e32 vcc_lo, v[10:11], v[12:13]
	v_mov_b32_e32 v13, v11
	v_mov_b32_e32 v12, v10
	s_or_b32 s13, vcc_lo, s13
	s_andn2_b32 exec_lo, exec_lo, s13
	s_cbranch_execnz .LBB14_98
.LBB14_99:                              ;   in Loop: Header=BB14_31 Depth=1
	s_or_b32 exec_lo, exec_lo, s12
	global_load_dwordx2 v[10:11], v17, s[6:7] offset:16
	s_mov_b32 s13, exec_lo
	s_mov_b32 s12, exec_lo
	v_mbcnt_lo_u32_b32 v12, s13, 0
	v_cmpx_eq_u32_e32 0, v12
	s_cbranch_execz .LBB14_101
; %bb.100:                              ;   in Loop: Header=BB14_31 Depth=1
	s_bcnt1_i32_b32 s13, s13
	v_mov_b32_e32 v16, s13
	s_waitcnt vmcnt(0)
	global_atomic_add_x2 v[10:11], v[16:17], off offset:8
.LBB14_101:                             ;   in Loop: Header=BB14_31 Depth=1
	s_or_b32 exec_lo, exec_lo, s12
	s_waitcnt vmcnt(0)
	global_load_dwordx2 v[12:13], v[10:11], off offset:16
	s_waitcnt vmcnt(0)
	v_cmp_eq_u64_e32 vcc_lo, 0, v[12:13]
	s_cbranch_vccnz .LBB14_103
; %bb.102:                              ;   in Loop: Header=BB14_31 Depth=1
	global_load_dword v16, v[10:11], off offset:24
	s_waitcnt vmcnt(0)
	v_readfirstlane_b32 s12, v16
	s_waitcnt_vscnt null, 0x0
	global_store_dwordx2 v[12:13], v[16:17], off
	s_and_b32 m0, s12, 0x7fffff
	s_sendmsg sendmsg(MSG_INTERRUPT)
.LBB14_103:                             ;   in Loop: Header=BB14_31 Depth=1
	s_or_b32 exec_lo, exec_lo, s5
	v_add_co_u32 v10, vcc_lo, v48, v37
	v_add_co_ci_u32_e64 v11, null, 0, v35, vcc_lo
	s_branch .LBB14_107
	.p2align	6
.LBB14_104:                             ;   in Loop: Header=BB14_107 Depth=2
	s_or_b32 exec_lo, exec_lo, s5
	v_readfirstlane_b32 s5, v12
	s_cmp_eq_u32 s5, 0
	s_cbranch_scc1 .LBB14_106
; %bb.105:                              ;   in Loop: Header=BB14_107 Depth=2
	s_sleep 1
	s_cbranch_execnz .LBB14_107
	s_branch .LBB14_109
	.p2align	6
.LBB14_106:                             ;   in Loop: Header=BB14_31 Depth=1
	s_branch .LBB14_109
.LBB14_107:                             ;   Parent Loop BB14_31 Depth=1
                                        ; =>  This Inner Loop Header: Depth=2
	v_mov_b32_e32 v12, 1
	s_and_saveexec_b32 s5, s4
	s_cbranch_execz .LBB14_104
; %bb.108:                              ;   in Loop: Header=BB14_107 Depth=2
	global_load_dword v12, v[3:4], off offset:20 glc dlc
	s_waitcnt vmcnt(0)
	buffer_gl1_inv
	buffer_gl0_inv
	v_and_b32_e32 v12, 1, v12
	s_branch .LBB14_104
.LBB14_109:                             ;   in Loop: Header=BB14_31 Depth=1
	global_load_dwordx2 v[10:11], v[10:11], off
	s_and_saveexec_b32 s12, s4
	s_cbranch_execz .LBB14_30
; %bb.110:                              ;   in Loop: Header=BB14_31 Depth=1
	s_clause 0x2
	global_load_dwordx2 v[3:4], v17, s[6:7] offset:40
	global_load_dwordx2 v[24:25], v17, s[6:7] offset:24 glc dlc
	global_load_dwordx2 v[12:13], v17, s[6:7]
	s_waitcnt vmcnt(2)
	v_readfirstlane_b32 s16, v3
	v_readfirstlane_b32 s17, v4
	s_add_u32 s13, s16, 1
	s_addc_u32 s18, s17, 0
	s_add_u32 s4, s13, s10
	s_addc_u32 s5, s18, s11
	s_cmp_eq_u64 s[4:5], 0
	s_cselect_b32 s5, s18, s5
	s_cselect_b32 s4, s13, s4
	v_mov_b32_e32 v23, s5
	s_and_b64 s[10:11], s[4:5], s[16:17]
	v_mov_b32_e32 v22, s4
	s_mul_i32 s11, s11, 24
	s_mul_hi_u32 s13, s10, 24
	s_mul_i32 s10, s10, 24
	s_add_i32 s13, s13, s11
	s_waitcnt vmcnt(0)
	v_add_co_u32 v3, vcc_lo, v12, s10
	v_add_co_ci_u32_e64 v4, null, s13, v13, vcc_lo
	global_store_dwordx2 v[3:4], v[24:25], off
	s_waitcnt_vscnt null, 0x0
	global_atomic_cmpswap_x2 v[22:23], v17, v[22:25], s[6:7] offset:24 glc
	s_waitcnt vmcnt(0)
	v_cmp_ne_u64_e32 vcc_lo, v[22:23], v[24:25]
	s_and_b32 exec_lo, exec_lo, vcc_lo
	s_cbranch_execz .LBB14_30
; %bb.111:                              ;   in Loop: Header=BB14_31 Depth=1
	s_mov_b32 s10, 0
.LBB14_112:                             ;   Parent Loop BB14_31 Depth=1
                                        ; =>  This Inner Loop Header: Depth=2
	v_mov_b32_e32 v20, s4
	v_mov_b32_e32 v21, s5
	s_sleep 1
	global_store_dwordx2 v[3:4], v[22:23], off
	s_waitcnt_vscnt null, 0x0
	global_atomic_cmpswap_x2 v[12:13], v17, v[20:23], s[6:7] offset:24 glc
	s_waitcnt vmcnt(0)
	v_cmp_eq_u64_e32 vcc_lo, v[12:13], v[22:23]
	v_mov_b32_e32 v23, v13
	v_mov_b32_e32 v22, v12
	s_or_b32 s10, vcc_lo, s10
	s_andn2_b32 exec_lo, exec_lo, s10
	s_cbranch_execnz .LBB14_112
	s_branch .LBB14_30
.LBB14_113:
                                        ; implicit-def: $vgpr10_vgpr11
	s_cbranch_execnz .LBB14_115
	s_branch .LBB14_142
.LBB14_114:
	s_or_b32 exec_lo, exec_lo, s14
	s_branch .LBB14_142
.LBB14_115:
	v_readfirstlane_b32 s4, v36
	v_mov_b32_e32 v0, 0
	v_mov_b32_e32 v1, 0
	v_cmp_eq_u32_e64 s4, s4, v36
	s_and_saveexec_b32 s5, s4
	s_cbranch_execz .LBB14_121
; %bb.116:
	v_mov_b32_e32 v3, 0
	s_mov_b32 s10, exec_lo
	global_load_dwordx2 v[12:13], v3, s[6:7] offset:24 glc dlc
	s_waitcnt vmcnt(0)
	buffer_gl1_inv
	buffer_gl0_inv
	s_clause 0x1
	global_load_dwordx2 v[0:1], v3, s[6:7] offset:40
	global_load_dwordx2 v[4:5], v3, s[6:7]
	s_waitcnt vmcnt(1)
	v_and_b32_e32 v1, v1, v13
	v_and_b32_e32 v0, v0, v12
	v_mul_lo_u32 v1, v1, 24
	v_mul_hi_u32 v10, v0, 24
	v_mul_lo_u32 v0, v0, 24
	v_add_nc_u32_e32 v1, v10, v1
	s_waitcnt vmcnt(0)
	v_add_co_u32 v0, vcc_lo, v4, v0
	v_add_co_ci_u32_e64 v1, null, v5, v1, vcc_lo
	global_load_dwordx2 v[10:11], v[0:1], off glc dlc
	s_waitcnt vmcnt(0)
	global_atomic_cmpswap_x2 v[0:1], v3, v[10:13], s[6:7] offset:24 glc
	s_waitcnt vmcnt(0)
	buffer_gl1_inv
	buffer_gl0_inv
	v_cmpx_ne_u64_e64 v[0:1], v[12:13]
	s_cbranch_execz .LBB14_120
; %bb.117:
	s_mov_b32 s11, 0
	.p2align	6
.LBB14_118:                             ; =>This Inner Loop Header: Depth=1
	s_sleep 1
	s_clause 0x1
	global_load_dwordx2 v[4:5], v3, s[6:7] offset:40
	global_load_dwordx2 v[10:11], v3, s[6:7]
	v_mov_b32_e32 v13, v1
	v_mov_b32_e32 v12, v0
	s_waitcnt vmcnt(1)
	v_and_b32_e32 v0, v4, v12
	v_and_b32_e32 v4, v5, v13
	s_waitcnt vmcnt(0)
	v_mad_u64_u32 v[0:1], null, v0, 24, v[10:11]
	v_mad_u64_u32 v[4:5], null, v4, 24, v[1:2]
	v_mov_b32_e32 v1, v4
	global_load_dwordx2 v[10:11], v[0:1], off glc dlc
	s_waitcnt vmcnt(0)
	global_atomic_cmpswap_x2 v[0:1], v3, v[10:13], s[6:7] offset:24 glc
	s_waitcnt vmcnt(0)
	buffer_gl1_inv
	buffer_gl0_inv
	v_cmp_eq_u64_e32 vcc_lo, v[0:1], v[12:13]
	s_or_b32 s11, vcc_lo, s11
	s_andn2_b32 exec_lo, exec_lo, s11
	s_cbranch_execnz .LBB14_118
; %bb.119:
	s_or_b32 exec_lo, exec_lo, s11
.LBB14_120:
	s_or_b32 exec_lo, exec_lo, s10
.LBB14_121:
	s_or_b32 exec_lo, exec_lo, s5
	v_mov_b32_e32 v16, 0
	v_readfirstlane_b32 s11, v1
	v_readfirstlane_b32 s10, v0
	s_mov_b32 s5, exec_lo
	s_clause 0x1
	global_load_dwordx2 v[3:4], v16, s[6:7] offset:40
	global_load_dwordx4 v[10:13], v16, s[6:7]
	s_waitcnt vmcnt(1)
	v_readfirstlane_b32 s12, v3
	v_readfirstlane_b32 s13, v4
	s_and_b64 s[12:13], s[12:13], s[10:11]
	s_mul_i32 s14, s13, 24
	s_mul_hi_u32 s15, s12, 24
	s_mul_i32 s16, s12, 24
	s_add_i32 s15, s15, s14
	s_waitcnt vmcnt(0)
	v_add_co_u32 v0, vcc_lo, v10, s16
	v_add_co_ci_u32_e64 v1, null, s15, v11, vcc_lo
	s_and_saveexec_b32 s14, s4
	s_cbranch_execz .LBB14_123
; %bb.122:
	v_mov_b32_e32 v17, s5
	v_mov_b32_e32 v18, v16
	;; [unrolled: 1-line block ×4, first 2 shown]
	global_store_dwordx4 v[0:1], v[17:20], off offset:8
.LBB14_123:
	s_or_b32 exec_lo, exec_lo, s14
	s_lshl_b64 s[12:13], s[12:13], 12
	v_and_or_b32 v14, 0xffffff1f, v14, 32
	v_add_co_u32 v3, vcc_lo, v12, s12
	v_add_co_ci_u32_e64 v4, null, s13, v13, vcc_lo
	s_mov_b32 s12, 0
	v_readfirstlane_b32 s16, v3
	s_mov_b32 s15, s12
	v_add_co_u32 v3, vcc_lo, v3, v37
	s_mov_b32 s13, s12
	s_mov_b32 s14, s12
	v_mov_b32_e32 v17, v16
	v_readfirstlane_b32 s17, v4
	v_mov_b32_e32 v21, s15
	v_add_co_ci_u32_e64 v4, null, 0, v4, vcc_lo
	v_mov_b32_e32 v20, s14
	v_mov_b32_e32 v19, s13
	v_mov_b32_e32 v18, s12
	global_store_dwordx4 v37, v[14:17], s[16:17]
	global_store_dwordx4 v37, v[18:21], s[16:17] offset:16
	global_store_dwordx4 v37, v[18:21], s[16:17] offset:32
	;; [unrolled: 1-line block ×3, first 2 shown]
	s_and_saveexec_b32 s5, s4
	s_cbranch_execz .LBB14_131
; %bb.124:
	v_mov_b32_e32 v5, 0
	v_mov_b32_e32 v16, s10
	;; [unrolled: 1-line block ×3, first 2 shown]
	s_clause 0x1
	global_load_dwordx2 v[18:19], v5, s[6:7] offset:32 glc dlc
	global_load_dwordx2 v[12:13], v5, s[6:7] offset:40
	s_waitcnt vmcnt(0)
	v_readfirstlane_b32 s12, v12
	v_readfirstlane_b32 s13, v13
	s_and_b64 s[12:13], s[12:13], s[10:11]
	s_mul_i32 s13, s13, 24
	s_mul_hi_u32 s14, s12, 24
	s_mul_i32 s12, s12, 24
	s_add_i32 s14, s14, s13
	v_add_co_u32 v14, vcc_lo, v10, s12
	v_add_co_ci_u32_e64 v15, null, s14, v11, vcc_lo
	s_mov_b32 s12, exec_lo
	global_store_dwordx2 v[14:15], v[18:19], off
	s_waitcnt_vscnt null, 0x0
	global_atomic_cmpswap_x2 v[12:13], v5, v[16:19], s[6:7] offset:32 glc
	s_waitcnt vmcnt(0)
	v_cmpx_ne_u64_e64 v[12:13], v[18:19]
	s_cbranch_execz .LBB14_127
; %bb.125:
	s_mov_b32 s13, 0
.LBB14_126:                             ; =>This Inner Loop Header: Depth=1
	v_mov_b32_e32 v10, s10
	v_mov_b32_e32 v11, s11
	s_sleep 1
	global_store_dwordx2 v[14:15], v[12:13], off
	s_waitcnt_vscnt null, 0x0
	global_atomic_cmpswap_x2 v[10:11], v5, v[10:13], s[6:7] offset:32 glc
	s_waitcnt vmcnt(0)
	v_cmp_eq_u64_e32 vcc_lo, v[10:11], v[12:13]
	v_mov_b32_e32 v13, v11
	v_mov_b32_e32 v12, v10
	s_or_b32 s13, vcc_lo, s13
	s_andn2_b32 exec_lo, exec_lo, s13
	s_cbranch_execnz .LBB14_126
.LBB14_127:
	s_or_b32 exec_lo, exec_lo, s12
	v_mov_b32_e32 v13, 0
	s_mov_b32 s13, exec_lo
	s_mov_b32 s12, exec_lo
	v_mbcnt_lo_u32_b32 v5, s13, 0
	global_load_dwordx2 v[10:11], v13, s[6:7] offset:16
	v_cmpx_eq_u32_e32 0, v5
	s_cbranch_execz .LBB14_129
; %bb.128:
	s_bcnt1_i32_b32 s13, s13
	v_mov_b32_e32 v12, s13
	s_waitcnt vmcnt(0)
	global_atomic_add_x2 v[10:11], v[12:13], off offset:8
.LBB14_129:
	s_or_b32 exec_lo, exec_lo, s12
	s_waitcnt vmcnt(0)
	global_load_dwordx2 v[12:13], v[10:11], off offset:16
	s_waitcnt vmcnt(0)
	v_cmp_eq_u64_e32 vcc_lo, 0, v[12:13]
	s_cbranch_vccnz .LBB14_131
; %bb.130:
	global_load_dword v10, v[10:11], off offset:24
	v_mov_b32_e32 v11, 0
	s_waitcnt vmcnt(0)
	v_readfirstlane_b32 s12, v10
	s_waitcnt_vscnt null, 0x0
	global_store_dwordx2 v[12:13], v[10:11], off
	s_and_b32 m0, s12, 0x7fffff
	s_sendmsg sendmsg(MSG_INTERRUPT)
.LBB14_131:
	s_or_b32 exec_lo, exec_lo, s5
	s_branch .LBB14_135
	.p2align	6
.LBB14_132:                             ;   in Loop: Header=BB14_135 Depth=1
	s_or_b32 exec_lo, exec_lo, s5
	v_readfirstlane_b32 s5, v5
	s_cmp_eq_u32 s5, 0
	s_cbranch_scc1 .LBB14_134
; %bb.133:                              ;   in Loop: Header=BB14_135 Depth=1
	s_sleep 1
	s_cbranch_execnz .LBB14_135
	s_branch .LBB14_137
	.p2align	6
.LBB14_134:
	s_branch .LBB14_137
.LBB14_135:                             ; =>This Inner Loop Header: Depth=1
	v_mov_b32_e32 v5, 1
	s_and_saveexec_b32 s5, s4
	s_cbranch_execz .LBB14_132
; %bb.136:                              ;   in Loop: Header=BB14_135 Depth=1
	global_load_dword v5, v[0:1], off offset:20 glc dlc
	s_waitcnt vmcnt(0)
	buffer_gl1_inv
	buffer_gl0_inv
	v_and_b32_e32 v5, 1, v5
	s_branch .LBB14_132
.LBB14_137:
	global_load_dwordx2 v[10:11], v[3:4], off
	s_and_saveexec_b32 s12, s4
	s_cbranch_execz .LBB14_141
; %bb.138:
	v_mov_b32_e32 v3, 0
	s_clause 0x2
	global_load_dwordx2 v[0:1], v3, s[6:7] offset:40
	global_load_dwordx2 v[16:17], v3, s[6:7] offset:24 glc dlc
	global_load_dwordx2 v[4:5], v3, s[6:7]
	s_waitcnt vmcnt(2)
	v_readfirstlane_b32 s14, v0
	v_readfirstlane_b32 s15, v1
	s_add_u32 s13, s14, 1
	s_addc_u32 s16, s15, 0
	s_add_u32 s4, s13, s10
	s_addc_u32 s5, s16, s11
	s_cmp_eq_u64 s[4:5], 0
	s_cselect_b32 s5, s16, s5
	s_cselect_b32 s4, s13, s4
	v_mov_b32_e32 v15, s5
	s_and_b64 s[10:11], s[4:5], s[14:15]
	v_mov_b32_e32 v14, s4
	s_mul_i32 s11, s11, 24
	s_mul_hi_u32 s13, s10, 24
	s_mul_i32 s10, s10, 24
	s_add_i32 s13, s13, s11
	s_waitcnt vmcnt(0)
	v_add_co_u32 v0, vcc_lo, v4, s10
	v_add_co_ci_u32_e64 v1, null, s13, v5, vcc_lo
	global_store_dwordx2 v[0:1], v[16:17], off
	s_waitcnt_vscnt null, 0x0
	global_atomic_cmpswap_x2 v[14:15], v3, v[14:17], s[6:7] offset:24 glc
	s_waitcnt vmcnt(0)
	v_cmp_ne_u64_e32 vcc_lo, v[14:15], v[16:17]
	s_and_b32 exec_lo, exec_lo, vcc_lo
	s_cbranch_execz .LBB14_141
; %bb.139:
	s_mov_b32 s10, 0
.LBB14_140:                             ; =>This Inner Loop Header: Depth=1
	v_mov_b32_e32 v12, s4
	v_mov_b32_e32 v13, s5
	s_sleep 1
	global_store_dwordx2 v[0:1], v[14:15], off
	s_waitcnt_vscnt null, 0x0
	global_atomic_cmpswap_x2 v[4:5], v3, v[12:15], s[6:7] offset:24 glc
	s_waitcnt vmcnt(0)
	v_cmp_eq_u64_e32 vcc_lo, v[4:5], v[14:15]
	v_mov_b32_e32 v15, v5
	v_mov_b32_e32 v14, v4
	s_or_b32 s10, vcc_lo, s10
	s_andn2_b32 exec_lo, exec_lo, s10
	s_cbranch_execnz .LBB14_140
.LBB14_141:
	s_or_b32 exec_lo, exec_lo, s12
.LBB14_142:
	s_getpc_b64 s[10:11]
	s_add_u32 s10, s10, .str.6@rel32@lo+4
	s_addc_u32 s11, s11, .str.6@rel32@hi+12
	s_cmp_lg_u64 s[10:11], 0
	s_cbranch_scc0 .LBB14_220
; %bb.143:
	s_getpc_b64 s[4:5]
	s_add_u32 s4, s4, .str.6@rel32@lo+95
	s_addc_u32 s5, s5, .str.6@rel32@hi+103
	s_waitcnt vmcnt(0)
	v_and_b32_e32 v5, 2, v10
	v_mov_b32_e32 v17, 0
	v_and_b32_e32 v12, -3, v10
	v_mov_b32_e32 v13, v11
	v_mov_b32_e32 v18, 2
	;; [unrolled: 1-line block ×3, first 2 shown]
	s_sub_i32 s12, s4, s10
	s_ashr_i32 s13, s12, 31
	s_branch .LBB14_145
.LBB14_144:                             ;   in Loop: Header=BB14_145 Depth=1
	s_or_b32 exec_lo, exec_lo, s18
	s_sub_u32 s12, s12, s14
	s_subb_u32 s13, s13, s15
	s_add_u32 s10, s10, s14
	s_addc_u32 s11, s11, s15
	s_cmp_lg_u64 s[12:13], 0
	s_cbranch_scc0 .LBB14_221
.LBB14_145:                             ; =>This Loop Header: Depth=1
                                        ;     Child Loop BB14_148 Depth 2
                                        ;     Child Loop BB14_155 Depth 2
	;; [unrolled: 1-line block ×11, first 2 shown]
	v_cmp_lt_u64_e64 s4, s[12:13], 56
	v_cmp_gt_u64_e64 s16, s[12:13], 7
	s_and_b32 s4, s4, exec_lo
	s_cselect_b32 s15, s13, 0
	s_cselect_b32 s14, s12, 56
	s_add_u32 s4, s10, 8
	s_addc_u32 s5, s11, 0
	s_and_b32 vcc_lo, exec_lo, s16
	s_cbranch_vccnz .LBB14_150
; %bb.146:                              ;   in Loop: Header=BB14_145 Depth=1
	v_mov_b32_e32 v14, 0
	v_mov_b32_e32 v15, 0
	s_cmp_eq_u64 s[12:13], 0
	s_cbranch_scc1 .LBB14_149
; %bb.147:                              ;   in Loop: Header=BB14_145 Depth=1
	s_lshl_b64 s[4:5], s[14:15], 3
	s_mov_b64 s[16:17], 0
	s_mov_b64 s[18:19], s[10:11]
.LBB14_148:                             ;   Parent Loop BB14_145 Depth=1
                                        ; =>  This Inner Loop Header: Depth=2
	global_load_ubyte v0, v17, s[18:19]
	s_waitcnt vmcnt(0)
	v_and_b32_e32 v16, 0xffff, v0
	v_lshlrev_b64 v[0:1], s16, v[16:17]
	s_add_u32 s16, s16, 8
	s_addc_u32 s17, s17, 0
	s_add_u32 s18, s18, 1
	s_addc_u32 s19, s19, 0
	s_cmp_lg_u32 s4, s16
	v_or_b32_e32 v14, v0, v14
	v_or_b32_e32 v15, v1, v15
	s_cbranch_scc1 .LBB14_148
.LBB14_149:                             ;   in Loop: Header=BB14_145 Depth=1
	s_mov_b64 s[4:5], s[10:11]
	s_mov_b32 s20, 0
	s_cbranch_execz .LBB14_151
	s_branch .LBB14_152
.LBB14_150:                             ;   in Loop: Header=BB14_145 Depth=1
	s_mov_b32 s20, 0
.LBB14_151:                             ;   in Loop: Header=BB14_145 Depth=1
	global_load_dwordx2 v[14:15], v17, s[10:11]
	s_add_i32 s20, s14, -8
.LBB14_152:                             ;   in Loop: Header=BB14_145 Depth=1
	s_add_u32 s16, s4, 8
	s_addc_u32 s17, s5, 0
	s_cmp_gt_u32 s20, 7
	s_cbranch_scc1 .LBB14_157
; %bb.153:                              ;   in Loop: Header=BB14_145 Depth=1
	v_mov_b32_e32 v20, 0
	v_mov_b32_e32 v21, 0
	s_cmp_eq_u32 s20, 0
	s_cbranch_scc1 .LBB14_156
; %bb.154:                              ;   in Loop: Header=BB14_145 Depth=1
	s_mov_b64 s[16:17], 0
	s_mov_b64 s[18:19], 0
.LBB14_155:                             ;   Parent Loop BB14_145 Depth=1
                                        ; =>  This Inner Loop Header: Depth=2
	s_add_u32 s22, s4, s18
	s_addc_u32 s23, s5, s19
	s_add_u32 s18, s18, 1
	global_load_ubyte v0, v17, s[22:23]
	s_addc_u32 s19, s19, 0
	s_waitcnt vmcnt(0)
	v_and_b32_e32 v16, 0xffff, v0
	v_lshlrev_b64 v[0:1], s16, v[16:17]
	s_add_u32 s16, s16, 8
	s_addc_u32 s17, s17, 0
	s_cmp_lg_u32 s20, s18
	v_or_b32_e32 v20, v0, v20
	v_or_b32_e32 v21, v1, v21
	s_cbranch_scc1 .LBB14_155
.LBB14_156:                             ;   in Loop: Header=BB14_145 Depth=1
	s_mov_b64 s[16:17], s[4:5]
	s_mov_b32 s21, 0
	s_cbranch_execz .LBB14_158
	s_branch .LBB14_159
.LBB14_157:                             ;   in Loop: Header=BB14_145 Depth=1
                                        ; implicit-def: $vgpr20_vgpr21
	s_mov_b32 s21, 0
.LBB14_158:                             ;   in Loop: Header=BB14_145 Depth=1
	global_load_dwordx2 v[20:21], v17, s[4:5]
	s_add_i32 s21, s20, -8
.LBB14_159:                             ;   in Loop: Header=BB14_145 Depth=1
	s_add_u32 s4, s16, 8
	s_addc_u32 s5, s17, 0
	s_cmp_gt_u32 s21, 7
	s_cbranch_scc1 .LBB14_164
; %bb.160:                              ;   in Loop: Header=BB14_145 Depth=1
	v_mov_b32_e32 v22, 0
	v_mov_b32_e32 v23, 0
	s_cmp_eq_u32 s21, 0
	s_cbranch_scc1 .LBB14_163
; %bb.161:                              ;   in Loop: Header=BB14_145 Depth=1
	s_mov_b64 s[4:5], 0
	s_mov_b64 s[18:19], 0
.LBB14_162:                             ;   Parent Loop BB14_145 Depth=1
                                        ; =>  This Inner Loop Header: Depth=2
	s_add_u32 s22, s16, s18
	s_addc_u32 s23, s17, s19
	s_add_u32 s18, s18, 1
	global_load_ubyte v0, v17, s[22:23]
	s_addc_u32 s19, s19, 0
	s_waitcnt vmcnt(0)
	v_and_b32_e32 v16, 0xffff, v0
	v_lshlrev_b64 v[0:1], s4, v[16:17]
	s_add_u32 s4, s4, 8
	s_addc_u32 s5, s5, 0
	s_cmp_lg_u32 s21, s18
	v_or_b32_e32 v22, v0, v22
	v_or_b32_e32 v23, v1, v23
	s_cbranch_scc1 .LBB14_162
.LBB14_163:                             ;   in Loop: Header=BB14_145 Depth=1
	s_mov_b64 s[4:5], s[16:17]
	s_mov_b32 s20, 0
	s_cbranch_execz .LBB14_165
	s_branch .LBB14_166
.LBB14_164:                             ;   in Loop: Header=BB14_145 Depth=1
	s_mov_b32 s20, 0
.LBB14_165:                             ;   in Loop: Header=BB14_145 Depth=1
	global_load_dwordx2 v[22:23], v17, s[16:17]
	s_add_i32 s20, s21, -8
.LBB14_166:                             ;   in Loop: Header=BB14_145 Depth=1
	s_add_u32 s16, s4, 8
	s_addc_u32 s17, s5, 0
	s_cmp_gt_u32 s20, 7
	s_cbranch_scc1 .LBB14_171
; %bb.167:                              ;   in Loop: Header=BB14_145 Depth=1
	v_mov_b32_e32 v24, 0
	v_mov_b32_e32 v25, 0
	s_cmp_eq_u32 s20, 0
	s_cbranch_scc1 .LBB14_170
; %bb.168:                              ;   in Loop: Header=BB14_145 Depth=1
	s_mov_b64 s[16:17], 0
	s_mov_b64 s[18:19], 0
.LBB14_169:                             ;   Parent Loop BB14_145 Depth=1
                                        ; =>  This Inner Loop Header: Depth=2
	s_add_u32 s22, s4, s18
	s_addc_u32 s23, s5, s19
	s_add_u32 s18, s18, 1
	global_load_ubyte v0, v17, s[22:23]
	s_addc_u32 s19, s19, 0
	s_waitcnt vmcnt(0)
	v_and_b32_e32 v16, 0xffff, v0
	v_lshlrev_b64 v[0:1], s16, v[16:17]
	s_add_u32 s16, s16, 8
	s_addc_u32 s17, s17, 0
	s_cmp_lg_u32 s20, s18
	v_or_b32_e32 v24, v0, v24
	v_or_b32_e32 v25, v1, v25
	s_cbranch_scc1 .LBB14_169
.LBB14_170:                             ;   in Loop: Header=BB14_145 Depth=1
	s_mov_b64 s[16:17], s[4:5]
	s_mov_b32 s21, 0
	s_cbranch_execz .LBB14_172
	s_branch .LBB14_173
.LBB14_171:                             ;   in Loop: Header=BB14_145 Depth=1
                                        ; implicit-def: $vgpr24_vgpr25
	s_mov_b32 s21, 0
.LBB14_172:                             ;   in Loop: Header=BB14_145 Depth=1
	global_load_dwordx2 v[24:25], v17, s[4:5]
	s_add_i32 s21, s20, -8
.LBB14_173:                             ;   in Loop: Header=BB14_145 Depth=1
	s_add_u32 s4, s16, 8
	s_addc_u32 s5, s17, 0
	s_cmp_gt_u32 s21, 7
	s_cbranch_scc1 .LBB14_178
; %bb.174:                              ;   in Loop: Header=BB14_145 Depth=1
	v_mov_b32_e32 v26, 0
	v_mov_b32_e32 v27, 0
	s_cmp_eq_u32 s21, 0
	s_cbranch_scc1 .LBB14_177
; %bb.175:                              ;   in Loop: Header=BB14_145 Depth=1
	s_mov_b64 s[4:5], 0
	s_mov_b64 s[18:19], 0
.LBB14_176:                             ;   Parent Loop BB14_145 Depth=1
                                        ; =>  This Inner Loop Header: Depth=2
	s_add_u32 s22, s16, s18
	s_addc_u32 s23, s17, s19
	s_add_u32 s18, s18, 1
	global_load_ubyte v0, v17, s[22:23]
	s_addc_u32 s19, s19, 0
	s_waitcnt vmcnt(0)
	v_and_b32_e32 v16, 0xffff, v0
	v_lshlrev_b64 v[0:1], s4, v[16:17]
	s_add_u32 s4, s4, 8
	s_addc_u32 s5, s5, 0
	s_cmp_lg_u32 s21, s18
	v_or_b32_e32 v26, v0, v26
	v_or_b32_e32 v27, v1, v27
	s_cbranch_scc1 .LBB14_176
.LBB14_177:                             ;   in Loop: Header=BB14_145 Depth=1
	s_mov_b64 s[4:5], s[16:17]
	s_mov_b32 s20, 0
	s_cbranch_execz .LBB14_179
	s_branch .LBB14_180
.LBB14_178:                             ;   in Loop: Header=BB14_145 Depth=1
	s_mov_b32 s20, 0
.LBB14_179:                             ;   in Loop: Header=BB14_145 Depth=1
	global_load_dwordx2 v[26:27], v17, s[16:17]
	s_add_i32 s20, s21, -8
.LBB14_180:                             ;   in Loop: Header=BB14_145 Depth=1
	s_add_u32 s16, s4, 8
	s_addc_u32 s17, s5, 0
	s_cmp_gt_u32 s20, 7
	s_cbranch_scc1 .LBB14_185
; %bb.181:                              ;   in Loop: Header=BB14_145 Depth=1
	v_mov_b32_e32 v28, 0
	v_mov_b32_e32 v29, 0
	s_cmp_eq_u32 s20, 0
	s_cbranch_scc1 .LBB14_184
; %bb.182:                              ;   in Loop: Header=BB14_145 Depth=1
	s_mov_b64 s[16:17], 0
	s_mov_b64 s[18:19], 0
.LBB14_183:                             ;   Parent Loop BB14_145 Depth=1
                                        ; =>  This Inner Loop Header: Depth=2
	s_add_u32 s22, s4, s18
	s_addc_u32 s23, s5, s19
	s_add_u32 s18, s18, 1
	global_load_ubyte v0, v17, s[22:23]
	s_addc_u32 s19, s19, 0
	s_waitcnt vmcnt(0)
	v_and_b32_e32 v16, 0xffff, v0
	v_lshlrev_b64 v[0:1], s16, v[16:17]
	s_add_u32 s16, s16, 8
	s_addc_u32 s17, s17, 0
	s_cmp_lg_u32 s20, s18
	v_or_b32_e32 v28, v0, v28
	v_or_b32_e32 v29, v1, v29
	s_cbranch_scc1 .LBB14_183
.LBB14_184:                             ;   in Loop: Header=BB14_145 Depth=1
	s_mov_b64 s[16:17], s[4:5]
	s_mov_b32 s21, 0
	s_cbranch_execz .LBB14_186
	s_branch .LBB14_187
.LBB14_185:                             ;   in Loop: Header=BB14_145 Depth=1
                                        ; implicit-def: $vgpr28_vgpr29
	s_mov_b32 s21, 0
.LBB14_186:                             ;   in Loop: Header=BB14_145 Depth=1
	global_load_dwordx2 v[28:29], v17, s[4:5]
	s_add_i32 s21, s20, -8
.LBB14_187:                             ;   in Loop: Header=BB14_145 Depth=1
	s_cmp_gt_u32 s21, 7
	s_cbranch_scc1 .LBB14_192
; %bb.188:                              ;   in Loop: Header=BB14_145 Depth=1
	v_mov_b32_e32 v30, 0
	v_mov_b32_e32 v31, 0
	s_cmp_eq_u32 s21, 0
	s_cbranch_scc1 .LBB14_191
; %bb.189:                              ;   in Loop: Header=BB14_145 Depth=1
	s_mov_b64 s[4:5], 0
	s_mov_b64 s[18:19], s[16:17]
.LBB14_190:                             ;   Parent Loop BB14_145 Depth=1
                                        ; =>  This Inner Loop Header: Depth=2
	global_load_ubyte v0, v17, s[18:19]
	s_add_i32 s21, s21, -1
	s_waitcnt vmcnt(0)
	v_and_b32_e32 v16, 0xffff, v0
	v_lshlrev_b64 v[0:1], s4, v[16:17]
	s_add_u32 s4, s4, 8
	s_addc_u32 s5, s5, 0
	s_add_u32 s18, s18, 1
	s_addc_u32 s19, s19, 0
	s_cmp_lg_u32 s21, 0
	v_or_b32_e32 v30, v0, v30
	v_or_b32_e32 v31, v1, v31
	s_cbranch_scc1 .LBB14_190
.LBB14_191:                             ;   in Loop: Header=BB14_145 Depth=1
	s_cbranch_execz .LBB14_193
	s_branch .LBB14_194
.LBB14_192:                             ;   in Loop: Header=BB14_145 Depth=1
.LBB14_193:                             ;   in Loop: Header=BB14_145 Depth=1
	global_load_dwordx2 v[30:31], v17, s[16:17]
.LBB14_194:                             ;   in Loop: Header=BB14_145 Depth=1
	v_readfirstlane_b32 s4, v36
	v_mov_b32_e32 v0, 0
	v_mov_b32_e32 v1, 0
	v_cmp_eq_u32_e64 s4, s4, v36
	s_and_saveexec_b32 s5, s4
	s_cbranch_execz .LBB14_200
; %bb.195:                              ;   in Loop: Header=BB14_145 Depth=1
	global_load_dwordx2 v[34:35], v17, s[6:7] offset:24 glc dlc
	s_waitcnt vmcnt(0)
	buffer_gl1_inv
	buffer_gl0_inv
	s_clause 0x1
	global_load_dwordx2 v[0:1], v17, s[6:7] offset:40
	global_load_dwordx2 v[3:4], v17, s[6:7]
	s_mov_b32 s16, exec_lo
	s_waitcnt vmcnt(1)
	v_and_b32_e32 v1, v1, v35
	v_and_b32_e32 v0, v0, v34
	v_mul_lo_u32 v1, v1, 24
	v_mul_hi_u32 v16, v0, 24
	v_mul_lo_u32 v0, v0, 24
	v_add_nc_u32_e32 v1, v16, v1
	s_waitcnt vmcnt(0)
	v_add_co_u32 v0, vcc_lo, v3, v0
	v_add_co_ci_u32_e64 v1, null, v4, v1, vcc_lo
	global_load_dwordx2 v[32:33], v[0:1], off glc dlc
	s_waitcnt vmcnt(0)
	global_atomic_cmpswap_x2 v[0:1], v17, v[32:35], s[6:7] offset:24 glc
	s_waitcnt vmcnt(0)
	buffer_gl1_inv
	buffer_gl0_inv
	v_cmpx_ne_u64_e64 v[0:1], v[34:35]
	s_cbranch_execz .LBB14_199
; %bb.196:                              ;   in Loop: Header=BB14_145 Depth=1
	s_mov_b32 s17, 0
	.p2align	6
.LBB14_197:                             ;   Parent Loop BB14_145 Depth=1
                                        ; =>  This Inner Loop Header: Depth=2
	s_sleep 1
	s_clause 0x1
	global_load_dwordx2 v[3:4], v17, s[6:7] offset:40
	global_load_dwordx2 v[32:33], v17, s[6:7]
	v_mov_b32_e32 v35, v1
	v_mov_b32_e32 v34, v0
	s_waitcnt vmcnt(1)
	v_and_b32_e32 v0, v3, v34
	v_and_b32_e32 v3, v4, v35
	s_waitcnt vmcnt(0)
	v_mad_u64_u32 v[0:1], null, v0, 24, v[32:33]
	v_mad_u64_u32 v[3:4], null, v3, 24, v[1:2]
	v_mov_b32_e32 v1, v3
	global_load_dwordx2 v[32:33], v[0:1], off glc dlc
	s_waitcnt vmcnt(0)
	global_atomic_cmpswap_x2 v[0:1], v17, v[32:35], s[6:7] offset:24 glc
	s_waitcnt vmcnt(0)
	buffer_gl1_inv
	buffer_gl0_inv
	v_cmp_eq_u64_e32 vcc_lo, v[0:1], v[34:35]
	s_or_b32 s17, vcc_lo, s17
	s_andn2_b32 exec_lo, exec_lo, s17
	s_cbranch_execnz .LBB14_197
; %bb.198:                              ;   in Loop: Header=BB14_145 Depth=1
	s_or_b32 exec_lo, exec_lo, s17
.LBB14_199:                             ;   in Loop: Header=BB14_145 Depth=1
	s_or_b32 exec_lo, exec_lo, s16
.LBB14_200:                             ;   in Loop: Header=BB14_145 Depth=1
	s_or_b32 exec_lo, exec_lo, s5
	s_clause 0x1
	global_load_dwordx2 v[3:4], v17, s[6:7] offset:40
	global_load_dwordx4 v[32:35], v17, s[6:7]
	v_readfirstlane_b32 s17, v1
	v_readfirstlane_b32 s16, v0
	s_mov_b32 s5, exec_lo
	s_waitcnt vmcnt(1)
	v_readfirstlane_b32 s18, v3
	v_readfirstlane_b32 s19, v4
	s_and_b64 s[18:19], s[18:19], s[16:17]
	s_mul_i32 s20, s19, 24
	s_mul_hi_u32 s21, s18, 24
	s_mul_i32 s22, s18, 24
	s_add_i32 s21, s21, s20
	s_waitcnt vmcnt(0)
	v_add_co_u32 v0, vcc_lo, v32, s22
	v_add_co_ci_u32_e64 v1, null, s21, v33, vcc_lo
	s_and_saveexec_b32 s20, s4
	s_cbranch_execz .LBB14_202
; %bb.201:                              ;   in Loop: Header=BB14_145 Depth=1
	v_mov_b32_e32 v16, s5
	global_store_dwordx4 v[0:1], v[16:19], off offset:8
.LBB14_202:                             ;   in Loop: Header=BB14_145 Depth=1
	s_or_b32 exec_lo, exec_lo, s20
	v_cmp_lt_u64_e64 vcc_lo, s[12:13], 57
	s_lshl_b64 s[18:19], s[18:19], 12
	v_and_b32_e32 v4, 0xffffff1f, v12
	s_lshl_b32 s5, s14, 2
	s_add_i32 s5, s5, 28
	v_cndmask_b32_e32 v3, 0, v5, vcc_lo
	v_add_co_u32 v34, vcc_lo, v34, s18
	v_add_co_ci_u32_e64 v35, null, s19, v35, vcc_lo
	v_or_b32_e32 v3, v4, v3
	v_readfirstlane_b32 s18, v34
	v_readfirstlane_b32 s19, v35
	v_and_or_b32 v12, 0x1e0, s5, v3
	global_store_dwordx4 v37, v[20:23], s[18:19] offset:16
	global_store_dwordx4 v37, v[12:15], s[18:19]
	global_store_dwordx4 v37, v[24:27], s[18:19] offset:32
	global_store_dwordx4 v37, v[28:31], s[18:19] offset:48
	s_and_saveexec_b32 s5, s4
	s_cbranch_execz .LBB14_210
; %bb.203:                              ;   in Loop: Header=BB14_145 Depth=1
	s_clause 0x1
	global_load_dwordx2 v[22:23], v17, s[6:7] offset:32 glc dlc
	global_load_dwordx2 v[3:4], v17, s[6:7] offset:40
	v_mov_b32_e32 v20, s16
	v_mov_b32_e32 v21, s17
	s_waitcnt vmcnt(0)
	v_readfirstlane_b32 s18, v3
	v_readfirstlane_b32 s19, v4
	s_and_b64 s[18:19], s[18:19], s[16:17]
	s_mul_i32 s19, s19, 24
	s_mul_hi_u32 s20, s18, 24
	s_mul_i32 s18, s18, 24
	s_add_i32 s20, s20, s19
	v_add_co_u32 v3, vcc_lo, v32, s18
	v_add_co_ci_u32_e64 v4, null, s20, v33, vcc_lo
	s_mov_b32 s18, exec_lo
	global_store_dwordx2 v[3:4], v[22:23], off
	s_waitcnt_vscnt null, 0x0
	global_atomic_cmpswap_x2 v[14:15], v17, v[20:23], s[6:7] offset:32 glc
	s_waitcnt vmcnt(0)
	v_cmpx_ne_u64_e64 v[14:15], v[22:23]
	s_cbranch_execz .LBB14_206
; %bb.204:                              ;   in Loop: Header=BB14_145 Depth=1
	s_mov_b32 s19, 0
.LBB14_205:                             ;   Parent Loop BB14_145 Depth=1
                                        ; =>  This Inner Loop Header: Depth=2
	v_mov_b32_e32 v12, s16
	v_mov_b32_e32 v13, s17
	s_sleep 1
	global_store_dwordx2 v[3:4], v[14:15], off
	s_waitcnt_vscnt null, 0x0
	global_atomic_cmpswap_x2 v[12:13], v17, v[12:15], s[6:7] offset:32 glc
	s_waitcnt vmcnt(0)
	v_cmp_eq_u64_e32 vcc_lo, v[12:13], v[14:15]
	v_mov_b32_e32 v15, v13
	v_mov_b32_e32 v14, v12
	s_or_b32 s19, vcc_lo, s19
	s_andn2_b32 exec_lo, exec_lo, s19
	s_cbranch_execnz .LBB14_205
.LBB14_206:                             ;   in Loop: Header=BB14_145 Depth=1
	s_or_b32 exec_lo, exec_lo, s18
	global_load_dwordx2 v[3:4], v17, s[6:7] offset:16
	s_mov_b32 s19, exec_lo
	s_mov_b32 s18, exec_lo
	v_mbcnt_lo_u32_b32 v12, s19, 0
	v_cmpx_eq_u32_e32 0, v12
	s_cbranch_execz .LBB14_208
; %bb.207:                              ;   in Loop: Header=BB14_145 Depth=1
	s_bcnt1_i32_b32 s19, s19
	v_mov_b32_e32 v16, s19
	s_waitcnt vmcnt(0)
	global_atomic_add_x2 v[3:4], v[16:17], off offset:8
.LBB14_208:                             ;   in Loop: Header=BB14_145 Depth=1
	s_or_b32 exec_lo, exec_lo, s18
	s_waitcnt vmcnt(0)
	global_load_dwordx2 v[12:13], v[3:4], off offset:16
	s_waitcnt vmcnt(0)
	v_cmp_eq_u64_e32 vcc_lo, 0, v[12:13]
	s_cbranch_vccnz .LBB14_210
; %bb.209:                              ;   in Loop: Header=BB14_145 Depth=1
	global_load_dword v16, v[3:4], off offset:24
	s_waitcnt vmcnt(0)
	v_readfirstlane_b32 s18, v16
	s_waitcnt_vscnt null, 0x0
	global_store_dwordx2 v[12:13], v[16:17], off
	s_and_b32 m0, s18, 0x7fffff
	s_sendmsg sendmsg(MSG_INTERRUPT)
.LBB14_210:                             ;   in Loop: Header=BB14_145 Depth=1
	s_or_b32 exec_lo, exec_lo, s5
	v_add_co_u32 v3, vcc_lo, v34, v37
	v_add_co_ci_u32_e64 v4, null, 0, v35, vcc_lo
	s_branch .LBB14_214
	.p2align	6
.LBB14_211:                             ;   in Loop: Header=BB14_214 Depth=2
	s_or_b32 exec_lo, exec_lo, s5
	v_readfirstlane_b32 s5, v12
	s_cmp_eq_u32 s5, 0
	s_cbranch_scc1 .LBB14_213
; %bb.212:                              ;   in Loop: Header=BB14_214 Depth=2
	s_sleep 1
	s_cbranch_execnz .LBB14_214
	s_branch .LBB14_216
	.p2align	6
.LBB14_213:                             ;   in Loop: Header=BB14_145 Depth=1
	s_branch .LBB14_216
.LBB14_214:                             ;   Parent Loop BB14_145 Depth=1
                                        ; =>  This Inner Loop Header: Depth=2
	v_mov_b32_e32 v12, 1
	s_and_saveexec_b32 s5, s4
	s_cbranch_execz .LBB14_211
; %bb.215:                              ;   in Loop: Header=BB14_214 Depth=2
	global_load_dword v12, v[0:1], off offset:20 glc dlc
	s_waitcnt vmcnt(0)
	buffer_gl1_inv
	buffer_gl0_inv
	v_and_b32_e32 v12, 1, v12
	s_branch .LBB14_211
.LBB14_216:                             ;   in Loop: Header=BB14_145 Depth=1
	global_load_dwordx2 v[12:13], v[3:4], off
	s_and_saveexec_b32 s18, s4
	s_cbranch_execz .LBB14_144
; %bb.217:                              ;   in Loop: Header=BB14_145 Depth=1
	s_clause 0x2
	global_load_dwordx2 v[0:1], v17, s[6:7] offset:40
	global_load_dwordx2 v[24:25], v17, s[6:7] offset:24 glc dlc
	global_load_dwordx2 v[3:4], v17, s[6:7]
	s_waitcnt vmcnt(2)
	v_readfirstlane_b32 s20, v0
	v_readfirstlane_b32 s21, v1
	s_add_u32 s19, s20, 1
	s_addc_u32 s22, s21, 0
	s_add_u32 s4, s19, s16
	s_addc_u32 s5, s22, s17
	s_cmp_eq_u64 s[4:5], 0
	s_cselect_b32 s5, s22, s5
	s_cselect_b32 s4, s19, s4
	v_mov_b32_e32 v23, s5
	s_and_b64 s[16:17], s[4:5], s[20:21]
	v_mov_b32_e32 v22, s4
	s_mul_i32 s17, s17, 24
	s_mul_hi_u32 s19, s16, 24
	s_mul_i32 s16, s16, 24
	s_add_i32 s19, s19, s17
	s_waitcnt vmcnt(0)
	v_add_co_u32 v0, vcc_lo, v3, s16
	v_add_co_ci_u32_e64 v1, null, s19, v4, vcc_lo
	global_store_dwordx2 v[0:1], v[24:25], off
	s_waitcnt_vscnt null, 0x0
	global_atomic_cmpswap_x2 v[22:23], v17, v[22:25], s[6:7] offset:24 glc
	s_waitcnt vmcnt(0)
	v_cmp_ne_u64_e32 vcc_lo, v[22:23], v[24:25]
	s_and_b32 exec_lo, exec_lo, vcc_lo
	s_cbranch_execz .LBB14_144
; %bb.218:                              ;   in Loop: Header=BB14_145 Depth=1
	s_mov_b32 s16, 0
.LBB14_219:                             ;   Parent Loop BB14_145 Depth=1
                                        ; =>  This Inner Loop Header: Depth=2
	v_mov_b32_e32 v20, s4
	v_mov_b32_e32 v21, s5
	s_sleep 1
	global_store_dwordx2 v[0:1], v[22:23], off
	s_waitcnt_vscnt null, 0x0
	global_atomic_cmpswap_x2 v[3:4], v17, v[20:23], s[6:7] offset:24 glc
	s_waitcnt vmcnt(0)
	v_cmp_eq_u64_e32 vcc_lo, v[3:4], v[22:23]
	v_mov_b32_e32 v23, v4
	v_mov_b32_e32 v22, v3
	s_or_b32 s16, vcc_lo, s16
	s_andn2_b32 exec_lo, exec_lo, s16
	s_cbranch_execnz .LBB14_219
	s_branch .LBB14_144
.LBB14_220:
                                        ; implicit-def: $vgpr12_vgpr13
	s_cbranch_execnz .LBB14_222
	s_branch .LBB14_249
.LBB14_221:
	s_branch .LBB14_249
.LBB14_222:
	v_readfirstlane_b32 s4, v36
	v_mov_b32_e32 v0, 0
	v_mov_b32_e32 v1, 0
	v_cmp_eq_u32_e64 s4, s4, v36
	s_and_saveexec_b32 s5, s4
	s_cbranch_execz .LBB14_228
; %bb.223:
	v_mov_b32_e32 v3, 0
	s_mov_b32 s10, exec_lo
	global_load_dwordx2 v[14:15], v3, s[6:7] offset:24 glc dlc
	s_waitcnt vmcnt(0)
	buffer_gl1_inv
	buffer_gl0_inv
	s_clause 0x1
	global_load_dwordx2 v[0:1], v3, s[6:7] offset:40
	global_load_dwordx2 v[4:5], v3, s[6:7]
	s_waitcnt vmcnt(1)
	v_and_b32_e32 v1, v1, v15
	v_and_b32_e32 v0, v0, v14
	v_mul_lo_u32 v1, v1, 24
	v_mul_hi_u32 v12, v0, 24
	v_mul_lo_u32 v0, v0, 24
	v_add_nc_u32_e32 v1, v12, v1
	s_waitcnt vmcnt(0)
	v_add_co_u32 v0, vcc_lo, v4, v0
	v_add_co_ci_u32_e64 v1, null, v5, v1, vcc_lo
	global_load_dwordx2 v[12:13], v[0:1], off glc dlc
	s_waitcnt vmcnt(0)
	global_atomic_cmpswap_x2 v[0:1], v3, v[12:15], s[6:7] offset:24 glc
	s_waitcnt vmcnt(0)
	buffer_gl1_inv
	buffer_gl0_inv
	v_cmpx_ne_u64_e64 v[0:1], v[14:15]
	s_cbranch_execz .LBB14_227
; %bb.224:
	s_mov_b32 s11, 0
	.p2align	6
.LBB14_225:                             ; =>This Inner Loop Header: Depth=1
	s_sleep 1
	s_clause 0x1
	global_load_dwordx2 v[4:5], v3, s[6:7] offset:40
	global_load_dwordx2 v[12:13], v3, s[6:7]
	v_mov_b32_e32 v15, v1
	v_mov_b32_e32 v14, v0
	s_waitcnt vmcnt(1)
	v_and_b32_e32 v0, v4, v14
	v_and_b32_e32 v4, v5, v15
	s_waitcnt vmcnt(0)
	v_mad_u64_u32 v[0:1], null, v0, 24, v[12:13]
	v_mad_u64_u32 v[4:5], null, v4, 24, v[1:2]
	v_mov_b32_e32 v1, v4
	global_load_dwordx2 v[12:13], v[0:1], off glc dlc
	s_waitcnt vmcnt(0)
	global_atomic_cmpswap_x2 v[0:1], v3, v[12:15], s[6:7] offset:24 glc
	s_waitcnt vmcnt(0)
	buffer_gl1_inv
	buffer_gl0_inv
	v_cmp_eq_u64_e32 vcc_lo, v[0:1], v[14:15]
	s_or_b32 s11, vcc_lo, s11
	s_andn2_b32 exec_lo, exec_lo, s11
	s_cbranch_execnz .LBB14_225
; %bb.226:
	s_or_b32 exec_lo, exec_lo, s11
.LBB14_227:
	s_or_b32 exec_lo, exec_lo, s10
.LBB14_228:
	s_or_b32 exec_lo, exec_lo, s5
	s_waitcnt vmcnt(0)
	v_mov_b32_e32 v12, 0
	v_readfirstlane_b32 s11, v1
	v_readfirstlane_b32 s10, v0
	s_mov_b32 s5, exec_lo
	s_clause 0x1
	global_load_dwordx2 v[3:4], v12, s[6:7] offset:40
	global_load_dwordx4 v[14:17], v12, s[6:7]
	s_waitcnt vmcnt(1)
	v_readfirstlane_b32 s12, v3
	v_readfirstlane_b32 s13, v4
	s_and_b64 s[12:13], s[12:13], s[10:11]
	s_mul_i32 s14, s13, 24
	s_mul_hi_u32 s15, s12, 24
	s_mul_i32 s16, s12, 24
	s_add_i32 s15, s15, s14
	s_waitcnt vmcnt(0)
	v_add_co_u32 v0, vcc_lo, v14, s16
	v_add_co_ci_u32_e64 v1, null, s15, v15, vcc_lo
	s_and_saveexec_b32 s14, s4
	s_cbranch_execz .LBB14_230
; %bb.229:
	v_mov_b32_e32 v18, s5
	v_mov_b32_e32 v19, v12
	v_mov_b32_e32 v20, 2
	v_mov_b32_e32 v21, 1
	global_store_dwordx4 v[0:1], v[18:21], off offset:8
.LBB14_230:
	s_or_b32 exec_lo, exec_lo, s14
	s_lshl_b64 s[12:13], s[12:13], 12
	v_and_or_b32 v10, 0xffffff1f, v10, 32
	v_add_co_u32 v3, vcc_lo, v16, s12
	v_add_co_ci_u32_e64 v4, null, s13, v17, vcc_lo
	s_mov_b32 s12, 0
	v_readfirstlane_b32 s16, v3
	s_mov_b32 s15, s12
	v_add_co_u32 v3, vcc_lo, v3, v37
	s_mov_b32 s13, s12
	s_mov_b32 s14, s12
	v_mov_b32_e32 v13, v12
	v_readfirstlane_b32 s17, v4
	v_mov_b32_e32 v19, s15
	v_add_co_ci_u32_e64 v4, null, 0, v4, vcc_lo
	v_mov_b32_e32 v18, s14
	v_mov_b32_e32 v17, s13
	;; [unrolled: 1-line block ×3, first 2 shown]
	global_store_dwordx4 v37, v[10:13], s[16:17]
	global_store_dwordx4 v37, v[16:19], s[16:17] offset:16
	global_store_dwordx4 v37, v[16:19], s[16:17] offset:32
	;; [unrolled: 1-line block ×3, first 2 shown]
	s_and_saveexec_b32 s5, s4
	s_cbranch_execz .LBB14_238
; %bb.231:
	v_mov_b32_e32 v5, 0
	v_mov_b32_e32 v16, s10
	v_mov_b32_e32 v17, s11
	s_clause 0x1
	global_load_dwordx2 v[18:19], v5, s[6:7] offset:32 glc dlc
	global_load_dwordx2 v[10:11], v5, s[6:7] offset:40
	s_waitcnt vmcnt(0)
	v_readfirstlane_b32 s12, v10
	v_readfirstlane_b32 s13, v11
	s_and_b64 s[12:13], s[12:13], s[10:11]
	s_mul_i32 s13, s13, 24
	s_mul_hi_u32 s14, s12, 24
	s_mul_i32 s12, s12, 24
	s_add_i32 s14, s14, s13
	v_add_co_u32 v14, vcc_lo, v14, s12
	v_add_co_ci_u32_e64 v15, null, s14, v15, vcc_lo
	s_mov_b32 s12, exec_lo
	global_store_dwordx2 v[14:15], v[18:19], off
	s_waitcnt_vscnt null, 0x0
	global_atomic_cmpswap_x2 v[12:13], v5, v[16:19], s[6:7] offset:32 glc
	s_waitcnt vmcnt(0)
	v_cmpx_ne_u64_e64 v[12:13], v[18:19]
	s_cbranch_execz .LBB14_234
; %bb.232:
	s_mov_b32 s13, 0
.LBB14_233:                             ; =>This Inner Loop Header: Depth=1
	v_mov_b32_e32 v10, s10
	v_mov_b32_e32 v11, s11
	s_sleep 1
	global_store_dwordx2 v[14:15], v[12:13], off
	s_waitcnt_vscnt null, 0x0
	global_atomic_cmpswap_x2 v[10:11], v5, v[10:13], s[6:7] offset:32 glc
	s_waitcnt vmcnt(0)
	v_cmp_eq_u64_e32 vcc_lo, v[10:11], v[12:13]
	v_mov_b32_e32 v13, v11
	v_mov_b32_e32 v12, v10
	s_or_b32 s13, vcc_lo, s13
	s_andn2_b32 exec_lo, exec_lo, s13
	s_cbranch_execnz .LBB14_233
.LBB14_234:
	s_or_b32 exec_lo, exec_lo, s12
	v_mov_b32_e32 v13, 0
	s_mov_b32 s13, exec_lo
	s_mov_b32 s12, exec_lo
	v_mbcnt_lo_u32_b32 v5, s13, 0
	global_load_dwordx2 v[10:11], v13, s[6:7] offset:16
	v_cmpx_eq_u32_e32 0, v5
	s_cbranch_execz .LBB14_236
; %bb.235:
	s_bcnt1_i32_b32 s13, s13
	v_mov_b32_e32 v12, s13
	s_waitcnt vmcnt(0)
	global_atomic_add_x2 v[10:11], v[12:13], off offset:8
.LBB14_236:
	s_or_b32 exec_lo, exec_lo, s12
	s_waitcnt vmcnt(0)
	global_load_dwordx2 v[12:13], v[10:11], off offset:16
	s_waitcnt vmcnt(0)
	v_cmp_eq_u64_e32 vcc_lo, 0, v[12:13]
	s_cbranch_vccnz .LBB14_238
; %bb.237:
	global_load_dword v10, v[10:11], off offset:24
	v_mov_b32_e32 v11, 0
	s_waitcnt vmcnt(0)
	v_readfirstlane_b32 s12, v10
	s_waitcnt_vscnt null, 0x0
	global_store_dwordx2 v[12:13], v[10:11], off
	s_and_b32 m0, s12, 0x7fffff
	s_sendmsg sendmsg(MSG_INTERRUPT)
.LBB14_238:
	s_or_b32 exec_lo, exec_lo, s5
	s_branch .LBB14_242
	.p2align	6
.LBB14_239:                             ;   in Loop: Header=BB14_242 Depth=1
	s_or_b32 exec_lo, exec_lo, s5
	v_readfirstlane_b32 s5, v5
	s_cmp_eq_u32 s5, 0
	s_cbranch_scc1 .LBB14_241
; %bb.240:                              ;   in Loop: Header=BB14_242 Depth=1
	s_sleep 1
	s_cbranch_execnz .LBB14_242
	s_branch .LBB14_244
	.p2align	6
.LBB14_241:
	s_branch .LBB14_244
.LBB14_242:                             ; =>This Inner Loop Header: Depth=1
	v_mov_b32_e32 v5, 1
	s_and_saveexec_b32 s5, s4
	s_cbranch_execz .LBB14_239
; %bb.243:                              ;   in Loop: Header=BB14_242 Depth=1
	global_load_dword v5, v[0:1], off offset:20 glc dlc
	s_waitcnt vmcnt(0)
	buffer_gl1_inv
	buffer_gl0_inv
	v_and_b32_e32 v5, 1, v5
	s_branch .LBB14_239
.LBB14_244:
	global_load_dwordx2 v[12:13], v[3:4], off
	s_and_saveexec_b32 s12, s4
	s_cbranch_execz .LBB14_248
; %bb.245:
	v_mov_b32_e32 v3, 0
	s_clause 0x2
	global_load_dwordx2 v[0:1], v3, s[6:7] offset:40
	global_load_dwordx2 v[18:19], v3, s[6:7] offset:24 glc dlc
	global_load_dwordx2 v[4:5], v3, s[6:7]
	s_waitcnt vmcnt(2)
	v_readfirstlane_b32 s14, v0
	v_readfirstlane_b32 s15, v1
	s_add_u32 s13, s14, 1
	s_addc_u32 s16, s15, 0
	s_add_u32 s4, s13, s10
	s_addc_u32 s5, s16, s11
	s_cmp_eq_u64 s[4:5], 0
	s_cselect_b32 s5, s16, s5
	s_cselect_b32 s4, s13, s4
	v_mov_b32_e32 v17, s5
	s_and_b64 s[10:11], s[4:5], s[14:15]
	v_mov_b32_e32 v16, s4
	s_mul_i32 s11, s11, 24
	s_mul_hi_u32 s13, s10, 24
	s_mul_i32 s10, s10, 24
	s_add_i32 s13, s13, s11
	s_waitcnt vmcnt(0)
	v_add_co_u32 v0, vcc_lo, v4, s10
	v_add_co_ci_u32_e64 v1, null, s13, v5, vcc_lo
	global_store_dwordx2 v[0:1], v[18:19], off
	s_waitcnt_vscnt null, 0x0
	global_atomic_cmpswap_x2 v[16:17], v3, v[16:19], s[6:7] offset:24 glc
	s_waitcnt vmcnt(0)
	v_cmp_ne_u64_e32 vcc_lo, v[16:17], v[18:19]
	s_and_b32 exec_lo, exec_lo, vcc_lo
	s_cbranch_execz .LBB14_248
; %bb.246:
	s_mov_b32 s10, 0
.LBB14_247:                             ; =>This Inner Loop Header: Depth=1
	v_mov_b32_e32 v14, s4
	v_mov_b32_e32 v15, s5
	s_sleep 1
	global_store_dwordx2 v[0:1], v[16:17], off
	s_waitcnt_vscnt null, 0x0
	global_atomic_cmpswap_x2 v[4:5], v3, v[14:17], s[6:7] offset:24 glc
	s_waitcnt vmcnt(0)
	v_cmp_eq_u64_e32 vcc_lo, v[4:5], v[16:17]
	v_mov_b32_e32 v17, v5
	v_mov_b32_e32 v16, v4
	s_or_b32 s10, vcc_lo, s10
	s_andn2_b32 exec_lo, exec_lo, s10
	s_cbranch_execnz .LBB14_247
.LBB14_248:
	s_or_b32 exec_lo, exec_lo, s12
.LBB14_249:
	v_readfirstlane_b32 s4, v36
	v_mov_b32_e32 v0, 0
	v_mov_b32_e32 v1, 0
	v_cmp_eq_u32_e64 s4, s4, v36
	s_and_saveexec_b32 s5, s4
	s_cbranch_execz .LBB14_255
; %bb.250:
	v_mov_b32_e32 v3, 0
	s_mov_b32 s10, exec_lo
	global_load_dwordx2 v[16:17], v3, s[6:7] offset:24 glc dlc
	s_waitcnt vmcnt(0)
	buffer_gl1_inv
	buffer_gl0_inv
	s_clause 0x1
	global_load_dwordx2 v[0:1], v3, s[6:7] offset:40
	global_load_dwordx2 v[4:5], v3, s[6:7]
	s_waitcnt vmcnt(1)
	v_and_b32_e32 v1, v1, v17
	v_and_b32_e32 v0, v0, v16
	v_mul_lo_u32 v1, v1, 24
	v_mul_hi_u32 v10, v0, 24
	v_mul_lo_u32 v0, v0, 24
	v_add_nc_u32_e32 v1, v10, v1
	s_waitcnt vmcnt(0)
	v_add_co_u32 v0, vcc_lo, v4, v0
	v_add_co_ci_u32_e64 v1, null, v5, v1, vcc_lo
	global_load_dwordx2 v[14:15], v[0:1], off glc dlc
	s_waitcnt vmcnt(0)
	global_atomic_cmpswap_x2 v[0:1], v3, v[14:17], s[6:7] offset:24 glc
	s_waitcnt vmcnt(0)
	buffer_gl1_inv
	buffer_gl0_inv
	v_cmpx_ne_u64_e64 v[0:1], v[16:17]
	s_cbranch_execz .LBB14_254
; %bb.251:
	s_mov_b32 s11, 0
	.p2align	6
.LBB14_252:                             ; =>This Inner Loop Header: Depth=1
	s_sleep 1
	s_clause 0x1
	global_load_dwordx2 v[4:5], v3, s[6:7] offset:40
	global_load_dwordx2 v[10:11], v3, s[6:7]
	v_mov_b32_e32 v17, v1
	v_mov_b32_e32 v16, v0
	s_waitcnt vmcnt(1)
	v_and_b32_e32 v0, v4, v16
	v_and_b32_e32 v4, v5, v17
	s_waitcnt vmcnt(0)
	v_mad_u64_u32 v[0:1], null, v0, 24, v[10:11]
	v_mad_u64_u32 v[4:5], null, v4, 24, v[1:2]
	v_mov_b32_e32 v1, v4
	global_load_dwordx2 v[14:15], v[0:1], off glc dlc
	s_waitcnt vmcnt(0)
	global_atomic_cmpswap_x2 v[0:1], v3, v[14:17], s[6:7] offset:24 glc
	s_waitcnt vmcnt(0)
	buffer_gl1_inv
	buffer_gl0_inv
	v_cmp_eq_u64_e32 vcc_lo, v[0:1], v[16:17]
	s_or_b32 s11, vcc_lo, s11
	s_andn2_b32 exec_lo, exec_lo, s11
	s_cbranch_execnz .LBB14_252
; %bb.253:
	s_or_b32 exec_lo, exec_lo, s11
.LBB14_254:
	s_or_b32 exec_lo, exec_lo, s10
.LBB14_255:
	s_or_b32 exec_lo, exec_lo, s5
	v_mov_b32_e32 v15, 0
	v_readfirstlane_b32 s11, v1
	v_readfirstlane_b32 s10, v0
	s_mov_b32 s5, exec_lo
	s_clause 0x1
	global_load_dwordx2 v[3:4], v15, s[6:7] offset:40
	global_load_dwordx4 v[16:19], v15, s[6:7]
	s_waitcnt vmcnt(1)
	v_readfirstlane_b32 s12, v3
	v_readfirstlane_b32 s13, v4
	s_and_b64 s[12:13], s[12:13], s[10:11]
	s_mul_i32 s14, s13, 24
	s_mul_hi_u32 s15, s12, 24
	s_mul_i32 s16, s12, 24
	s_add_i32 s15, s15, s14
	s_waitcnt vmcnt(0)
	v_add_co_u32 v4, vcc_lo, v16, s16
	v_add_co_ci_u32_e64 v5, null, s15, v17, vcc_lo
	s_and_saveexec_b32 s14, s4
	s_cbranch_execz .LBB14_257
; %bb.256:
	v_mov_b32_e32 v14, s5
	v_mov_b32_e32 v21, v15
	;; [unrolled: 1-line block ×5, first 2 shown]
	global_store_dwordx4 v[4:5], v[20:23], off offset:8
.LBB14_257:
	s_or_b32 exec_lo, exec_lo, s14
	s_lshl_b64 s[12:13], s[12:13], 12
	v_and_or_b32 v12, 0xffffff1f, v12, 32
	v_add_co_u32 v10, vcc_lo, v18, s12
	v_add_co_ci_u32_e64 v11, null, s13, v19, vcc_lo
	s_mov_b32 s12, 0
	v_readfirstlane_b32 s16, v10
	v_add_co_u32 v10, vcc_lo, v10, v37
	s_mov_b32 s13, s12
	s_mov_b32 s14, s12
	;; [unrolled: 1-line block ×3, first 2 shown]
	v_mov_b32_e32 v14, v2
	v_readfirstlane_b32 s17, v11
	v_mov_b32_e32 v0, s12
	v_add_co_ci_u32_e64 v11, null, 0, v11, vcc_lo
	v_mov_b32_e32 v1, s13
	v_mov_b32_e32 v2, s14
	;; [unrolled: 1-line block ×3, first 2 shown]
	global_store_dwordx4 v37, v[12:15], s[16:17]
	global_store_dwordx4 v37, v[0:3], s[16:17] offset:16
	global_store_dwordx4 v37, v[0:3], s[16:17] offset:32
	;; [unrolled: 1-line block ×3, first 2 shown]
	s_and_saveexec_b32 s5, s4
	s_cbranch_execz .LBB14_265
; %bb.258:
	v_mov_b32_e32 v14, 0
	s_clause 0x1
	global_load_dwordx2 v[18:19], v14, s[6:7] offset:32 glc dlc
	global_load_dwordx2 v[0:1], v14, s[6:7] offset:40
	s_waitcnt vmcnt(0)
	v_readfirstlane_b32 s12, v0
	v_readfirstlane_b32 s13, v1
	s_and_b64 s[12:13], s[12:13], s[10:11]
	s_mul_i32 s13, s13, 24
	s_mul_hi_u32 s14, s12, 24
	s_mul_i32 s12, s12, 24
	s_add_i32 s14, s14, s13
	v_add_co_u32 v12, vcc_lo, v16, s12
	v_add_co_ci_u32_e64 v13, null, s14, v17, vcc_lo
	v_mov_b32_e32 v16, s10
	v_mov_b32_e32 v17, s11
	s_mov_b32 s12, exec_lo
	global_store_dwordx2 v[12:13], v[18:19], off
	s_waitcnt_vscnt null, 0x0
	global_atomic_cmpswap_x2 v[2:3], v14, v[16:19], s[6:7] offset:32 glc
	s_waitcnt vmcnt(0)
	v_cmpx_ne_u64_e64 v[2:3], v[18:19]
	s_cbranch_execz .LBB14_261
; %bb.259:
	s_mov_b32 s13, 0
.LBB14_260:                             ; =>This Inner Loop Header: Depth=1
	v_mov_b32_e32 v0, s10
	v_mov_b32_e32 v1, s11
	s_sleep 1
	global_store_dwordx2 v[12:13], v[2:3], off
	s_waitcnt_vscnt null, 0x0
	global_atomic_cmpswap_x2 v[0:1], v14, v[0:3], s[6:7] offset:32 glc
	s_waitcnt vmcnt(0)
	v_cmp_eq_u64_e32 vcc_lo, v[0:1], v[2:3]
	v_mov_b32_e32 v3, v1
	v_mov_b32_e32 v2, v0
	s_or_b32 s13, vcc_lo, s13
	s_andn2_b32 exec_lo, exec_lo, s13
	s_cbranch_execnz .LBB14_260
.LBB14_261:
	s_or_b32 exec_lo, exec_lo, s12
	v_mov_b32_e32 v3, 0
	s_mov_b32 s13, exec_lo
	s_mov_b32 s12, exec_lo
	v_mbcnt_lo_u32_b32 v2, s13, 0
	global_load_dwordx2 v[0:1], v3, s[6:7] offset:16
	v_cmpx_eq_u32_e32 0, v2
	s_cbranch_execz .LBB14_263
; %bb.262:
	s_bcnt1_i32_b32 s13, s13
	v_mov_b32_e32 v2, s13
	s_waitcnt vmcnt(0)
	global_atomic_add_x2 v[0:1], v[2:3], off offset:8
.LBB14_263:
	s_or_b32 exec_lo, exec_lo, s12
	s_waitcnt vmcnt(0)
	global_load_dwordx2 v[2:3], v[0:1], off offset:16
	s_waitcnt vmcnt(0)
	v_cmp_eq_u64_e32 vcc_lo, 0, v[2:3]
	s_cbranch_vccnz .LBB14_265
; %bb.264:
	global_load_dword v0, v[0:1], off offset:24
	v_mov_b32_e32 v1, 0
	s_waitcnt vmcnt(0)
	v_readfirstlane_b32 s12, v0
	s_waitcnt_vscnt null, 0x0
	global_store_dwordx2 v[2:3], v[0:1], off
	s_and_b32 m0, s12, 0x7fffff
	s_sendmsg sendmsg(MSG_INTERRUPT)
.LBB14_265:
	s_or_b32 exec_lo, exec_lo, s5
	s_branch .LBB14_269
	.p2align	6
.LBB14_266:                             ;   in Loop: Header=BB14_269 Depth=1
	s_or_b32 exec_lo, exec_lo, s5
	v_readfirstlane_b32 s5, v0
	s_cmp_eq_u32 s5, 0
	s_cbranch_scc1 .LBB14_268
; %bb.267:                              ;   in Loop: Header=BB14_269 Depth=1
	s_sleep 1
	s_cbranch_execnz .LBB14_269
	s_branch .LBB14_271
	.p2align	6
.LBB14_268:
	s_branch .LBB14_271
.LBB14_269:                             ; =>This Inner Loop Header: Depth=1
	v_mov_b32_e32 v0, 1
	s_and_saveexec_b32 s5, s4
	s_cbranch_execz .LBB14_266
; %bb.270:                              ;   in Loop: Header=BB14_269 Depth=1
	global_load_dword v0, v[4:5], off offset:20 glc dlc
	s_waitcnt vmcnt(0)
	buffer_gl1_inv
	buffer_gl0_inv
	v_and_b32_e32 v0, 1, v0
	s_branch .LBB14_266
.LBB14_271:
	global_load_dwordx2 v[0:1], v[10:11], off
	s_and_saveexec_b32 s12, s4
	s_cbranch_execz .LBB14_275
; %bb.272:
	v_mov_b32_e32 v12, 0
	s_clause 0x2
	global_load_dwordx2 v[2:3], v12, s[6:7] offset:40
	global_load_dwordx2 v[15:16], v12, s[6:7] offset:24 glc dlc
	global_load_dwordx2 v[4:5], v12, s[6:7]
	s_waitcnt vmcnt(2)
	v_readfirstlane_b32 s14, v2
	v_readfirstlane_b32 s15, v3
	s_add_u32 s13, s14, 1
	s_addc_u32 s16, s15, 0
	s_add_u32 s4, s13, s10
	s_addc_u32 s5, s16, s11
	s_cmp_eq_u64 s[4:5], 0
	s_cselect_b32 s5, s16, s5
	s_cselect_b32 s4, s13, s4
	v_mov_b32_e32 v14, s5
	s_and_b64 s[10:11], s[4:5], s[14:15]
	v_mov_b32_e32 v13, s4
	s_mul_i32 s11, s11, 24
	s_mul_hi_u32 s13, s10, 24
	s_mul_i32 s10, s10, 24
	s_add_i32 s13, s13, s11
	s_waitcnt vmcnt(0)
	v_add_co_u32 v10, vcc_lo, v4, s10
	v_add_co_ci_u32_e64 v11, null, s13, v5, vcc_lo
	global_store_dwordx2 v[10:11], v[15:16], off
	s_waitcnt_vscnt null, 0x0
	global_atomic_cmpswap_x2 v[4:5], v12, v[13:16], s[6:7] offset:24 glc
	s_waitcnt vmcnt(0)
	v_cmp_ne_u64_e32 vcc_lo, v[4:5], v[15:16]
	s_and_b32 exec_lo, exec_lo, vcc_lo
	s_cbranch_execz .LBB14_275
; %bb.273:
	s_mov_b32 s10, 0
.LBB14_274:                             ; =>This Inner Loop Header: Depth=1
	v_mov_b32_e32 v2, s4
	v_mov_b32_e32 v3, s5
	s_sleep 1
	global_store_dwordx2 v[10:11], v[4:5], off
	s_waitcnt_vscnt null, 0x0
	global_atomic_cmpswap_x2 v[2:3], v12, v[2:5], s[6:7] offset:24 glc
	s_waitcnt vmcnt(0)
	v_cmp_eq_u64_e32 vcc_lo, v[2:3], v[4:5]
	v_mov_b32_e32 v5, v3
	v_mov_b32_e32 v4, v2
	s_or_b32 s10, vcc_lo, s10
	s_andn2_b32 exec_lo, exec_lo, s10
	s_cbranch_execnz .LBB14_274
.LBB14_275:
	s_or_b32 exec_lo, exec_lo, s12
	v_mov_b32_e32 v3, v6
	v_mov_b32_e32 v4, v7
	s_mov_b32 s4, 0
.LBB14_276:                             ; =>This Inner Loop Header: Depth=1
	global_load_ubyte v5, v[3:4], off
	v_add_co_u32 v2, vcc_lo, v3, 1
	v_add_co_ci_u32_e64 v3, null, 0, v4, vcc_lo
	v_mov_b32_e32 v4, v3
	v_mov_b32_e32 v3, v2
	s_waitcnt vmcnt(0)
	v_cmp_eq_u16_e32 vcc_lo, 0, v5
	s_or_b32 s4, vcc_lo, s4
	s_andn2_b32 exec_lo, exec_lo, s4
	s_cbranch_execnz .LBB14_276
; %bb.277:
	s_or_b32 exec_lo, exec_lo, s4
	s_mov_b32 s4, exec_lo
	v_cmpx_ne_u64_e32 0, v[6:7]
	s_xor_b32 s14, exec_lo, s4
	s_cbranch_execz .LBB14_363
; %bb.278:
	v_sub_nc_u32_e32 v30, v2, v6
	v_and_b32_e32 v34, 2, v0
	v_mov_b32_e32 v11, 0
	v_and_b32_e32 v0, -3, v0
	v_mov_b32_e32 v12, 2
	v_ashrrev_i32_e32 v31, 31, v30
	v_mov_b32_e32 v13, 1
	s_mov_b32 s16, 0
	s_mov_b32 s15, 0
	s_branch .LBB14_280
.LBB14_279:                             ;   in Loop: Header=BB14_280 Depth=1
	s_or_b32 exec_lo, exec_lo, s12
	v_sub_co_u32 v30, vcc_lo, v30, v32
	v_sub_co_ci_u32_e64 v31, null, v31, v33, vcc_lo
	v_add_co_u32 v6, s4, v6, v32
	v_add_co_ci_u32_e64 v7, null, v7, v33, s4
	v_cmp_eq_u64_e32 vcc_lo, 0, v[30:31]
	s_or_b32 s15, vcc_lo, s15
	s_andn2_b32 exec_lo, exec_lo, s15
	s_cbranch_execz .LBB14_362
.LBB14_280:                             ; =>This Loop Header: Depth=1
                                        ;     Child Loop BB14_283 Depth 2
                                        ;     Child Loop BB14_291 Depth 2
	;; [unrolled: 1-line block ×11, first 2 shown]
	v_cmp_gt_u64_e32 vcc_lo, 56, v[30:31]
	s_mov_b32 s5, exec_lo
	v_cndmask_b32_e32 v33, 0, v31, vcc_lo
	v_cndmask_b32_e32 v32, 56, v30, vcc_lo
	v_add_co_u32 v16, vcc_lo, v6, 8
	v_add_co_ci_u32_e64 v17, null, 0, v7, vcc_lo
	v_cmpx_gt_u64_e32 8, v[30:31]
	s_xor_b32 s5, exec_lo, s5
	s_cbranch_execz .LBB14_286
; %bb.281:                              ;   in Loop: Header=BB14_280 Depth=1
	v_mov_b32_e32 v2, 0
	v_mov_b32_e32 v3, 0
	s_mov_b32 s12, exec_lo
	v_cmpx_ne_u64_e32 0, v[30:31]
	s_cbranch_execz .LBB14_285
; %bb.282:                              ;   in Loop: Header=BB14_280 Depth=1
	v_lshlrev_b64 v[4:5], 3, v[32:33]
	v_mov_b32_e32 v2, 0
	v_mov_b32_e32 v15, v7
	;; [unrolled: 1-line block ×4, first 2 shown]
	s_mov_b64 s[10:11], 0
	s_mov_b32 s13, 0
	.p2align	6
.LBB14_283:                             ;   Parent Loop BB14_280 Depth=1
                                        ; =>  This Inner Loop Header: Depth=2
	global_load_ubyte v5, v[14:15], off
	v_mov_b32_e32 v17, s16
	v_add_co_u32 v14, vcc_lo, v14, 1
	v_add_co_ci_u32_e64 v15, null, 0, v15, vcc_lo
	s_waitcnt vmcnt(0)
	v_and_b32_e32 v16, 0xffff, v5
	v_lshlrev_b64 v[16:17], s10, v[16:17]
	s_add_u32 s10, s10, 8
	s_addc_u32 s11, s11, 0
	v_cmp_eq_u32_e64 s4, s10, v4
	v_or_b32_e32 v3, v17, v3
	v_or_b32_e32 v2, v16, v2
	s_or_b32 s13, s4, s13
	s_andn2_b32 exec_lo, exec_lo, s13
	s_cbranch_execnz .LBB14_283
; %bb.284:                              ;   in Loop: Header=BB14_280 Depth=1
	s_or_b32 exec_lo, exec_lo, s13
.LBB14_285:                             ;   in Loop: Header=BB14_280 Depth=1
	s_or_b32 exec_lo, exec_lo, s12
	v_mov_b32_e32 v17, v7
	v_mov_b32_e32 v16, v6
.LBB14_286:                             ;   in Loop: Header=BB14_280 Depth=1
	s_or_saveexec_b32 s4, s5
	v_mov_b32_e32 v10, 0
	s_xor_b32 exec_lo, exec_lo, s4
	s_cbranch_execz .LBB14_288
; %bb.287:                              ;   in Loop: Header=BB14_280 Depth=1
	global_load_dwordx2 v[2:3], v[6:7], off
	v_add_nc_u32_e32 v10, -8, v32
.LBB14_288:                             ;   in Loop: Header=BB14_280 Depth=1
	s_or_b32 exec_lo, exec_lo, s4
	v_add_co_u32 v4, s4, v16, 8
	v_add_co_ci_u32_e64 v5, null, 0, v17, s4
                                        ; implicit-def: $vgpr14_vgpr15
	s_mov_b32 s4, exec_lo
	v_cmpx_gt_u32_e32 8, v10
	s_xor_b32 s12, exec_lo, s4
	s_cbranch_execz .LBB14_294
; %bb.289:                              ;   in Loop: Header=BB14_280 Depth=1
	v_mov_b32_e32 v14, 0
	v_mov_b32_e32 v15, 0
	s_mov_b32 s13, exec_lo
	v_cmpx_ne_u32_e32 0, v10
	s_cbranch_execz .LBB14_293
; %bb.290:                              ;   in Loop: Header=BB14_280 Depth=1
	v_mov_b32_e32 v14, 0
	v_mov_b32_e32 v15, 0
	s_mov_b64 s[4:5], 0
	s_mov_b32 s17, 0
	s_mov_b64 s[10:11], 0
	.p2align	6
.LBB14_291:                             ;   Parent Loop BB14_280 Depth=1
                                        ; =>  This Inner Loop Header: Depth=2
	v_add_co_u32 v4, vcc_lo, v16, s10
	v_add_co_ci_u32_e64 v5, null, s11, v17, vcc_lo
	s_add_u32 s10, s10, 1
	s_addc_u32 s11, s11, 0
	v_cmp_eq_u32_e32 vcc_lo, s10, v10
	global_load_ubyte v4, v[4:5], off
	v_mov_b32_e32 v5, s16
	s_waitcnt vmcnt(0)
	v_and_b32_e32 v4, 0xffff, v4
	v_lshlrev_b64 v[4:5], s4, v[4:5]
	s_add_u32 s4, s4, 8
	s_addc_u32 s5, s5, 0
	s_or_b32 s17, vcc_lo, s17
	v_or_b32_e32 v15, v5, v15
	v_or_b32_e32 v14, v4, v14
	s_andn2_b32 exec_lo, exec_lo, s17
	s_cbranch_execnz .LBB14_291
; %bb.292:                              ;   in Loop: Header=BB14_280 Depth=1
	s_or_b32 exec_lo, exec_lo, s17
.LBB14_293:                             ;   in Loop: Header=BB14_280 Depth=1
	s_or_b32 exec_lo, exec_lo, s13
	v_mov_b32_e32 v4, v16
	v_mov_b32_e32 v5, v17
                                        ; implicit-def: $vgpr10
.LBB14_294:                             ;   in Loop: Header=BB14_280 Depth=1
	s_or_saveexec_b32 s4, s12
	v_mov_b32_e32 v18, 0
	s_xor_b32 exec_lo, exec_lo, s4
	s_cbranch_execz .LBB14_296
; %bb.295:                              ;   in Loop: Header=BB14_280 Depth=1
	global_load_dwordx2 v[14:15], v[16:17], off
	v_add_nc_u32_e32 v18, -8, v10
.LBB14_296:                             ;   in Loop: Header=BB14_280 Depth=1
	s_or_b32 exec_lo, exec_lo, s4
	v_add_co_u32 v20, s4, v4, 8
	v_add_co_ci_u32_e64 v21, null, 0, v5, s4
	s_mov_b32 s4, exec_lo
	v_cmpx_gt_u32_e32 8, v18
	s_xor_b32 s12, exec_lo, s4
	s_cbranch_execz .LBB14_302
; %bb.297:                              ;   in Loop: Header=BB14_280 Depth=1
	v_mov_b32_e32 v16, 0
	v_mov_b32_e32 v17, 0
	s_mov_b32 s13, exec_lo
	v_cmpx_ne_u32_e32 0, v18
	s_cbranch_execz .LBB14_301
; %bb.298:                              ;   in Loop: Header=BB14_280 Depth=1
	v_mov_b32_e32 v16, 0
	v_mov_b32_e32 v17, 0
	s_mov_b64 s[4:5], 0
	s_mov_b32 s17, 0
	s_mov_b64 s[10:11], 0
	.p2align	6
.LBB14_299:                             ;   Parent Loop BB14_280 Depth=1
                                        ; =>  This Inner Loop Header: Depth=2
	v_add_co_u32 v19, vcc_lo, v4, s10
	v_add_co_ci_u32_e64 v20, null, s11, v5, vcc_lo
	s_add_u32 s10, s10, 1
	s_addc_u32 s11, s11, 0
	v_cmp_eq_u32_e32 vcc_lo, s10, v18
	global_load_ubyte v10, v[19:20], off
	v_mov_b32_e32 v20, s16
	s_waitcnt vmcnt(0)
	v_and_b32_e32 v19, 0xffff, v10
	v_lshlrev_b64 v[19:20], s4, v[19:20]
	s_add_u32 s4, s4, 8
	s_addc_u32 s5, s5, 0
	s_or_b32 s17, vcc_lo, s17
	v_or_b32_e32 v17, v20, v17
	v_or_b32_e32 v16, v19, v16
	s_andn2_b32 exec_lo, exec_lo, s17
	s_cbranch_execnz .LBB14_299
; %bb.300:                              ;   in Loop: Header=BB14_280 Depth=1
	s_or_b32 exec_lo, exec_lo, s17
.LBB14_301:                             ;   in Loop: Header=BB14_280 Depth=1
	s_or_b32 exec_lo, exec_lo, s13
	v_mov_b32_e32 v21, v5
	v_mov_b32_e32 v20, v4
                                        ; implicit-def: $vgpr18
.LBB14_302:                             ;   in Loop: Header=BB14_280 Depth=1
	s_or_saveexec_b32 s4, s12
	v_mov_b32_e32 v10, 0
	s_xor_b32 exec_lo, exec_lo, s4
	s_cbranch_execz .LBB14_304
; %bb.303:                              ;   in Loop: Header=BB14_280 Depth=1
	global_load_dwordx2 v[16:17], v[4:5], off
	v_add_nc_u32_e32 v10, -8, v18
.LBB14_304:                             ;   in Loop: Header=BB14_280 Depth=1
	s_or_b32 exec_lo, exec_lo, s4
	v_add_co_u32 v4, s4, v20, 8
	v_add_co_ci_u32_e64 v5, null, 0, v21, s4
                                        ; implicit-def: $vgpr18_vgpr19
	s_mov_b32 s4, exec_lo
	v_cmpx_gt_u32_e32 8, v10
	s_xor_b32 s12, exec_lo, s4
	s_cbranch_execz .LBB14_310
; %bb.305:                              ;   in Loop: Header=BB14_280 Depth=1
	v_mov_b32_e32 v18, 0
	v_mov_b32_e32 v19, 0
	s_mov_b32 s13, exec_lo
	v_cmpx_ne_u32_e32 0, v10
	s_cbranch_execz .LBB14_309
; %bb.306:                              ;   in Loop: Header=BB14_280 Depth=1
	v_mov_b32_e32 v18, 0
	v_mov_b32_e32 v19, 0
	s_mov_b64 s[4:5], 0
	s_mov_b32 s17, 0
	s_mov_b64 s[10:11], 0
	.p2align	6
.LBB14_307:                             ;   Parent Loop BB14_280 Depth=1
                                        ; =>  This Inner Loop Header: Depth=2
	v_add_co_u32 v4, vcc_lo, v20, s10
	v_add_co_ci_u32_e64 v5, null, s11, v21, vcc_lo
	s_add_u32 s10, s10, 1
	s_addc_u32 s11, s11, 0
	v_cmp_eq_u32_e32 vcc_lo, s10, v10
	global_load_ubyte v4, v[4:5], off
	v_mov_b32_e32 v5, s16
	s_waitcnt vmcnt(0)
	v_and_b32_e32 v4, 0xffff, v4
	v_lshlrev_b64 v[4:5], s4, v[4:5]
	s_add_u32 s4, s4, 8
	s_addc_u32 s5, s5, 0
	s_or_b32 s17, vcc_lo, s17
	v_or_b32_e32 v19, v5, v19
	v_or_b32_e32 v18, v4, v18
	s_andn2_b32 exec_lo, exec_lo, s17
	s_cbranch_execnz .LBB14_307
; %bb.308:                              ;   in Loop: Header=BB14_280 Depth=1
	s_or_b32 exec_lo, exec_lo, s17
.LBB14_309:                             ;   in Loop: Header=BB14_280 Depth=1
	s_or_b32 exec_lo, exec_lo, s13
	v_mov_b32_e32 v4, v20
	v_mov_b32_e32 v5, v21
                                        ; implicit-def: $vgpr10
.LBB14_310:                             ;   in Loop: Header=BB14_280 Depth=1
	s_or_saveexec_b32 s4, s12
	v_mov_b32_e32 v22, 0
	s_xor_b32 exec_lo, exec_lo, s4
	s_cbranch_execz .LBB14_312
; %bb.311:                              ;   in Loop: Header=BB14_280 Depth=1
	global_load_dwordx2 v[18:19], v[20:21], off
	v_add_nc_u32_e32 v22, -8, v10
.LBB14_312:                             ;   in Loop: Header=BB14_280 Depth=1
	s_or_b32 exec_lo, exec_lo, s4
	v_add_co_u32 v24, s4, v4, 8
	v_add_co_ci_u32_e64 v25, null, 0, v5, s4
	s_mov_b32 s4, exec_lo
	v_cmpx_gt_u32_e32 8, v22
	s_xor_b32 s12, exec_lo, s4
	s_cbranch_execz .LBB14_318
; %bb.313:                              ;   in Loop: Header=BB14_280 Depth=1
	v_mov_b32_e32 v20, 0
	v_mov_b32_e32 v21, 0
	s_mov_b32 s13, exec_lo
	v_cmpx_ne_u32_e32 0, v22
	s_cbranch_execz .LBB14_317
; %bb.314:                              ;   in Loop: Header=BB14_280 Depth=1
	v_mov_b32_e32 v20, 0
	v_mov_b32_e32 v21, 0
	s_mov_b64 s[4:5], 0
	s_mov_b32 s17, 0
	s_mov_b64 s[10:11], 0
	.p2align	6
.LBB14_315:                             ;   Parent Loop BB14_280 Depth=1
                                        ; =>  This Inner Loop Header: Depth=2
	v_add_co_u32 v23, vcc_lo, v4, s10
	v_add_co_ci_u32_e64 v24, null, s11, v5, vcc_lo
	s_add_u32 s10, s10, 1
	s_addc_u32 s11, s11, 0
	v_cmp_eq_u32_e32 vcc_lo, s10, v22
	global_load_ubyte v10, v[23:24], off
	v_mov_b32_e32 v24, s16
	s_waitcnt vmcnt(0)
	v_and_b32_e32 v23, 0xffff, v10
	v_lshlrev_b64 v[23:24], s4, v[23:24]
	s_add_u32 s4, s4, 8
	s_addc_u32 s5, s5, 0
	s_or_b32 s17, vcc_lo, s17
	v_or_b32_e32 v21, v24, v21
	v_or_b32_e32 v20, v23, v20
	s_andn2_b32 exec_lo, exec_lo, s17
	s_cbranch_execnz .LBB14_315
; %bb.316:                              ;   in Loop: Header=BB14_280 Depth=1
	s_or_b32 exec_lo, exec_lo, s17
.LBB14_317:                             ;   in Loop: Header=BB14_280 Depth=1
	s_or_b32 exec_lo, exec_lo, s13
	v_mov_b32_e32 v25, v5
	v_mov_b32_e32 v24, v4
                                        ; implicit-def: $vgpr22
.LBB14_318:                             ;   in Loop: Header=BB14_280 Depth=1
	s_or_saveexec_b32 s4, s12
	v_mov_b32_e32 v10, 0
	s_xor_b32 exec_lo, exec_lo, s4
	s_cbranch_execz .LBB14_320
; %bb.319:                              ;   in Loop: Header=BB14_280 Depth=1
	global_load_dwordx2 v[20:21], v[4:5], off
	v_add_nc_u32_e32 v10, -8, v22
.LBB14_320:                             ;   in Loop: Header=BB14_280 Depth=1
	s_or_b32 exec_lo, exec_lo, s4
	v_add_co_u32 v4, s4, v24, 8
	v_add_co_ci_u32_e64 v5, null, 0, v25, s4
                                        ; implicit-def: $vgpr22_vgpr23
	s_mov_b32 s4, exec_lo
	v_cmpx_gt_u32_e32 8, v10
	s_xor_b32 s12, exec_lo, s4
	s_cbranch_execz .LBB14_326
; %bb.321:                              ;   in Loop: Header=BB14_280 Depth=1
	v_mov_b32_e32 v22, 0
	v_mov_b32_e32 v23, 0
	s_mov_b32 s13, exec_lo
	v_cmpx_ne_u32_e32 0, v10
	s_cbranch_execz .LBB14_325
; %bb.322:                              ;   in Loop: Header=BB14_280 Depth=1
	v_mov_b32_e32 v22, 0
	v_mov_b32_e32 v23, 0
	s_mov_b64 s[4:5], 0
	s_mov_b32 s17, 0
	s_mov_b64 s[10:11], 0
	.p2align	6
.LBB14_323:                             ;   Parent Loop BB14_280 Depth=1
                                        ; =>  This Inner Loop Header: Depth=2
	v_add_co_u32 v4, vcc_lo, v24, s10
	v_add_co_ci_u32_e64 v5, null, s11, v25, vcc_lo
	s_add_u32 s10, s10, 1
	s_addc_u32 s11, s11, 0
	v_cmp_eq_u32_e32 vcc_lo, s10, v10
	global_load_ubyte v4, v[4:5], off
	v_mov_b32_e32 v5, s16
	s_waitcnt vmcnt(0)
	v_and_b32_e32 v4, 0xffff, v4
	v_lshlrev_b64 v[4:5], s4, v[4:5]
	s_add_u32 s4, s4, 8
	s_addc_u32 s5, s5, 0
	s_or_b32 s17, vcc_lo, s17
	v_or_b32_e32 v23, v5, v23
	v_or_b32_e32 v22, v4, v22
	s_andn2_b32 exec_lo, exec_lo, s17
	s_cbranch_execnz .LBB14_323
; %bb.324:                              ;   in Loop: Header=BB14_280 Depth=1
	s_or_b32 exec_lo, exec_lo, s17
.LBB14_325:                             ;   in Loop: Header=BB14_280 Depth=1
	s_or_b32 exec_lo, exec_lo, s13
	v_mov_b32_e32 v4, v24
	v_mov_b32_e32 v5, v25
                                        ; implicit-def: $vgpr10
.LBB14_326:                             ;   in Loop: Header=BB14_280 Depth=1
	s_or_saveexec_b32 s4, s12
	v_mov_b32_e32 v26, 0
	s_xor_b32 exec_lo, exec_lo, s4
	s_cbranch_execz .LBB14_328
; %bb.327:                              ;   in Loop: Header=BB14_280 Depth=1
	global_load_dwordx2 v[22:23], v[24:25], off
	v_add_nc_u32_e32 v26, -8, v10
.LBB14_328:                             ;   in Loop: Header=BB14_280 Depth=1
	s_or_b32 exec_lo, exec_lo, s4
	s_mov_b32 s4, exec_lo
	v_cmpx_gt_u32_e32 8, v26
	s_xor_b32 s10, exec_lo, s4
	s_cbranch_execz .LBB14_334
; %bb.329:                              ;   in Loop: Header=BB14_280 Depth=1
	v_mov_b32_e32 v24, 0
	v_mov_b32_e32 v25, 0
	s_mov_b32 s11, exec_lo
	v_cmpx_ne_u32_e32 0, v26
	s_cbranch_execz .LBB14_333
; %bb.330:                              ;   in Loop: Header=BB14_280 Depth=1
	v_mov_b32_e32 v24, 0
	v_mov_b32_e32 v25, 0
	s_mov_b64 s[4:5], 0
	s_mov_b32 s12, 0
	.p2align	6
.LBB14_331:                             ;   Parent Loop BB14_280 Depth=1
                                        ; =>  This Inner Loop Header: Depth=2
	global_load_ubyte v10, v[4:5], off
	v_mov_b32_e32 v28, s16
	v_add_nc_u32_e32 v26, -1, v26
	v_add_co_u32 v4, vcc_lo, v4, 1
	v_add_co_ci_u32_e64 v5, null, 0, v5, vcc_lo
	v_cmp_eq_u32_e32 vcc_lo, 0, v26
	s_waitcnt vmcnt(0)
	v_and_b32_e32 v27, 0xffff, v10
	v_lshlrev_b64 v[27:28], s4, v[27:28]
	s_add_u32 s4, s4, 8
	s_addc_u32 s5, s5, 0
	s_or_b32 s12, vcc_lo, s12
	v_or_b32_e32 v25, v28, v25
	v_or_b32_e32 v24, v27, v24
	s_andn2_b32 exec_lo, exec_lo, s12
	s_cbranch_execnz .LBB14_331
; %bb.332:                              ;   in Loop: Header=BB14_280 Depth=1
	s_or_b32 exec_lo, exec_lo, s12
.LBB14_333:                             ;   in Loop: Header=BB14_280 Depth=1
	s_or_b32 exec_lo, exec_lo, s11
                                        ; implicit-def: $vgpr4_vgpr5
.LBB14_334:                             ;   in Loop: Header=BB14_280 Depth=1
	s_andn2_saveexec_b32 s4, s10
	s_cbranch_execz .LBB14_336
; %bb.335:                              ;   in Loop: Header=BB14_280 Depth=1
	global_load_dwordx2 v[24:25], v[4:5], off
.LBB14_336:                             ;   in Loop: Header=BB14_280 Depth=1
	s_or_b32 exec_lo, exec_lo, s4
	v_readfirstlane_b32 s4, v36
	v_mov_b32_e32 v4, 0
	v_mov_b32_e32 v5, 0
	v_cmp_eq_u32_e64 s4, s4, v36
	s_and_saveexec_b32 s5, s4
	s_cbranch_execz .LBB14_342
; %bb.337:                              ;   in Loop: Header=BB14_280 Depth=1
	global_load_dwordx2 v[28:29], v11, s[6:7] offset:24 glc dlc
	s_waitcnt vmcnt(0)
	buffer_gl1_inv
	buffer_gl0_inv
	s_clause 0x1
	global_load_dwordx2 v[4:5], v11, s[6:7] offset:40
	global_load_dwordx2 v[26:27], v11, s[6:7]
	s_mov_b32 s10, exec_lo
	s_waitcnt vmcnt(1)
	v_and_b32_e32 v5, v5, v29
	v_and_b32_e32 v4, v4, v28
	v_mul_lo_u32 v5, v5, 24
	v_mul_hi_u32 v10, v4, 24
	v_mul_lo_u32 v4, v4, 24
	v_add_nc_u32_e32 v5, v10, v5
	s_waitcnt vmcnt(0)
	v_add_co_u32 v4, vcc_lo, v26, v4
	v_add_co_ci_u32_e64 v5, null, v27, v5, vcc_lo
	global_load_dwordx2 v[26:27], v[4:5], off glc dlc
	s_waitcnt vmcnt(0)
	global_atomic_cmpswap_x2 v[4:5], v11, v[26:29], s[6:7] offset:24 glc
	s_waitcnt vmcnt(0)
	buffer_gl1_inv
	buffer_gl0_inv
	v_cmpx_ne_u64_e64 v[4:5], v[28:29]
	s_cbranch_execz .LBB14_341
; %bb.338:                              ;   in Loop: Header=BB14_280 Depth=1
	s_mov_b32 s11, 0
	.p2align	6
.LBB14_339:                             ;   Parent Loop BB14_280 Depth=1
                                        ; =>  This Inner Loop Header: Depth=2
	s_sleep 1
	s_clause 0x1
	global_load_dwordx2 v[26:27], v11, s[6:7] offset:40
	global_load_dwordx2 v[38:39], v11, s[6:7]
	v_mov_b32_e32 v29, v5
	v_mov_b32_e32 v28, v4
	s_waitcnt vmcnt(1)
	v_and_b32_e32 v4, v26, v28
	v_and_b32_e32 v10, v27, v29
	s_waitcnt vmcnt(0)
	v_mad_u64_u32 v[4:5], null, v4, 24, v[38:39]
	v_mad_u64_u32 v[26:27], null, v10, 24, v[5:6]
	v_mov_b32_e32 v5, v26
	global_load_dwordx2 v[26:27], v[4:5], off glc dlc
	s_waitcnt vmcnt(0)
	global_atomic_cmpswap_x2 v[4:5], v11, v[26:29], s[6:7] offset:24 glc
	s_waitcnt vmcnt(0)
	buffer_gl1_inv
	buffer_gl0_inv
	v_cmp_eq_u64_e32 vcc_lo, v[4:5], v[28:29]
	s_or_b32 s11, vcc_lo, s11
	s_andn2_b32 exec_lo, exec_lo, s11
	s_cbranch_execnz .LBB14_339
; %bb.340:                              ;   in Loop: Header=BB14_280 Depth=1
	s_or_b32 exec_lo, exec_lo, s11
.LBB14_341:                             ;   in Loop: Header=BB14_280 Depth=1
	s_or_b32 exec_lo, exec_lo, s10
.LBB14_342:                             ;   in Loop: Header=BB14_280 Depth=1
	s_or_b32 exec_lo, exec_lo, s5
	s_clause 0x1
	global_load_dwordx2 v[38:39], v11, s[6:7] offset:40
	global_load_dwordx4 v[26:29], v11, s[6:7]
	v_readfirstlane_b32 s11, v5
	v_readfirstlane_b32 s10, v4
	s_mov_b32 s5, exec_lo
	s_waitcnt vmcnt(1)
	v_readfirstlane_b32 s12, v38
	v_readfirstlane_b32 s13, v39
	s_and_b64 s[12:13], s[12:13], s[10:11]
	s_mul_i32 s17, s13, 24
	s_mul_hi_u32 s18, s12, 24
	s_mul_i32 s19, s12, 24
	s_add_i32 s18, s18, s17
	s_waitcnt vmcnt(0)
	v_add_co_u32 v4, vcc_lo, v26, s19
	v_add_co_ci_u32_e64 v5, null, s18, v27, vcc_lo
	s_and_saveexec_b32 s17, s4
	s_cbranch_execz .LBB14_344
; %bb.343:                              ;   in Loop: Header=BB14_280 Depth=1
	v_mov_b32_e32 v10, s5
	global_store_dwordx4 v[4:5], v[10:13], off offset:8
.LBB14_344:                             ;   in Loop: Header=BB14_280 Depth=1
	s_or_b32 exec_lo, exec_lo, s17
	v_cmp_gt_u64_e32 vcc_lo, 57, v[30:31]
	s_lshl_b64 s[12:13], s[12:13], 12
	v_and_b32_e32 v0, 0xffffff1f, v0
	v_lshl_add_u32 v35, v32, 2, 28
	v_cndmask_b32_e32 v10, 0, v34, vcc_lo
	v_add_co_u32 v28, vcc_lo, v28, s12
	v_add_co_ci_u32_e64 v29, null, s13, v29, vcc_lo
	v_or_b32_e32 v0, v0, v10
	v_readfirstlane_b32 s12, v28
	v_readfirstlane_b32 s13, v29
	v_and_or_b32 v0, 0x1e0, v35, v0
	global_store_dwordx4 v37, v[14:17], s[12:13] offset:16
	global_store_dwordx4 v37, v[18:21], s[12:13] offset:32
	global_store_dwordx4 v37, v[0:3], s[12:13]
	global_store_dwordx4 v37, v[22:25], s[12:13] offset:48
	s_and_saveexec_b32 s5, s4
	s_cbranch_execz .LBB14_352
; %bb.345:                              ;   in Loop: Header=BB14_280 Depth=1
	s_clause 0x1
	global_load_dwordx2 v[18:19], v11, s[6:7] offset:32 glc dlc
	global_load_dwordx2 v[0:1], v11, s[6:7] offset:40
	v_mov_b32_e32 v16, s10
	v_mov_b32_e32 v17, s11
	s_waitcnt vmcnt(0)
	v_readfirstlane_b32 s12, v0
	v_readfirstlane_b32 s13, v1
	s_and_b64 s[12:13], s[12:13], s[10:11]
	s_mul_i32 s13, s13, 24
	s_mul_hi_u32 s17, s12, 24
	s_mul_i32 s12, s12, 24
	s_add_i32 s17, s17, s13
	v_add_co_u32 v14, vcc_lo, v26, s12
	v_add_co_ci_u32_e64 v15, null, s17, v27, vcc_lo
	s_mov_b32 s12, exec_lo
	global_store_dwordx2 v[14:15], v[18:19], off
	s_waitcnt_vscnt null, 0x0
	global_atomic_cmpswap_x2 v[2:3], v11, v[16:19], s[6:7] offset:32 glc
	s_waitcnt vmcnt(0)
	v_cmpx_ne_u64_e64 v[2:3], v[18:19]
	s_cbranch_execz .LBB14_348
; %bb.346:                              ;   in Loop: Header=BB14_280 Depth=1
	s_mov_b32 s13, 0
.LBB14_347:                             ;   Parent Loop BB14_280 Depth=1
                                        ; =>  This Inner Loop Header: Depth=2
	v_mov_b32_e32 v0, s10
	v_mov_b32_e32 v1, s11
	s_sleep 1
	global_store_dwordx2 v[14:15], v[2:3], off
	s_waitcnt_vscnt null, 0x0
	global_atomic_cmpswap_x2 v[0:1], v11, v[0:3], s[6:7] offset:32 glc
	s_waitcnt vmcnt(0)
	v_cmp_eq_u64_e32 vcc_lo, v[0:1], v[2:3]
	v_mov_b32_e32 v3, v1
	v_mov_b32_e32 v2, v0
	s_or_b32 s13, vcc_lo, s13
	s_andn2_b32 exec_lo, exec_lo, s13
	s_cbranch_execnz .LBB14_347
.LBB14_348:                             ;   in Loop: Header=BB14_280 Depth=1
	s_or_b32 exec_lo, exec_lo, s12
	global_load_dwordx2 v[0:1], v11, s[6:7] offset:16
	s_mov_b32 s13, exec_lo
	s_mov_b32 s12, exec_lo
	v_mbcnt_lo_u32_b32 v2, s13, 0
	v_cmpx_eq_u32_e32 0, v2
	s_cbranch_execz .LBB14_350
; %bb.349:                              ;   in Loop: Header=BB14_280 Depth=1
	s_bcnt1_i32_b32 s13, s13
	v_mov_b32_e32 v10, s13
	s_waitcnt vmcnt(0)
	global_atomic_add_x2 v[0:1], v[10:11], off offset:8
.LBB14_350:                             ;   in Loop: Header=BB14_280 Depth=1
	s_or_b32 exec_lo, exec_lo, s12
	s_waitcnt vmcnt(0)
	global_load_dwordx2 v[2:3], v[0:1], off offset:16
	s_waitcnt vmcnt(0)
	v_cmp_eq_u64_e32 vcc_lo, 0, v[2:3]
	s_cbranch_vccnz .LBB14_352
; %bb.351:                              ;   in Loop: Header=BB14_280 Depth=1
	global_load_dword v10, v[0:1], off offset:24
	s_waitcnt vmcnt(0)
	v_readfirstlane_b32 s12, v10
	s_waitcnt_vscnt null, 0x0
	global_store_dwordx2 v[2:3], v[10:11], off
	s_and_b32 m0, s12, 0x7fffff
	s_sendmsg sendmsg(MSG_INTERRUPT)
.LBB14_352:                             ;   in Loop: Header=BB14_280 Depth=1
	s_or_b32 exec_lo, exec_lo, s5
	v_add_co_u32 v0, vcc_lo, v28, v37
	v_add_co_ci_u32_e64 v1, null, 0, v29, vcc_lo
	s_branch .LBB14_356
	.p2align	6
.LBB14_353:                             ;   in Loop: Header=BB14_356 Depth=2
	s_or_b32 exec_lo, exec_lo, s5
	v_readfirstlane_b32 s5, v2
	s_cmp_eq_u32 s5, 0
	s_cbranch_scc1 .LBB14_355
; %bb.354:                              ;   in Loop: Header=BB14_356 Depth=2
	s_sleep 1
	s_cbranch_execnz .LBB14_356
	s_branch .LBB14_358
	.p2align	6
.LBB14_355:                             ;   in Loop: Header=BB14_280 Depth=1
	s_branch .LBB14_358
.LBB14_356:                             ;   Parent Loop BB14_280 Depth=1
                                        ; =>  This Inner Loop Header: Depth=2
	v_mov_b32_e32 v2, 1
	s_and_saveexec_b32 s5, s4
	s_cbranch_execz .LBB14_353
; %bb.357:                              ;   in Loop: Header=BB14_356 Depth=2
	global_load_dword v2, v[4:5], off offset:20 glc dlc
	s_waitcnt vmcnt(0)
	buffer_gl1_inv
	buffer_gl0_inv
	v_and_b32_e32 v2, 1, v2
	s_branch .LBB14_353
.LBB14_358:                             ;   in Loop: Header=BB14_280 Depth=1
	global_load_dwordx2 v[0:1], v[0:1], off
	s_and_saveexec_b32 s12, s4
	s_cbranch_execz .LBB14_279
; %bb.359:                              ;   in Loop: Header=BB14_280 Depth=1
	s_clause 0x2
	global_load_dwordx2 v[2:3], v11, s[6:7] offset:40
	global_load_dwordx2 v[18:19], v11, s[6:7] offset:24 glc dlc
	global_load_dwordx2 v[4:5], v11, s[6:7]
	s_waitcnt vmcnt(2)
	v_readfirstlane_b32 s18, v2
	v_readfirstlane_b32 s19, v3
	s_add_u32 s13, s18, 1
	s_addc_u32 s17, s19, 0
	s_add_u32 s4, s13, s10
	s_addc_u32 s5, s17, s11
	s_cmp_eq_u64 s[4:5], 0
	s_cselect_b32 s5, s17, s5
	s_cselect_b32 s4, s13, s4
	v_mov_b32_e32 v17, s5
	s_and_b64 s[10:11], s[4:5], s[18:19]
	v_mov_b32_e32 v16, s4
	s_mul_i32 s11, s11, 24
	s_mul_hi_u32 s13, s10, 24
	s_mul_i32 s10, s10, 24
	s_add_i32 s13, s13, s11
	s_waitcnt vmcnt(0)
	v_add_co_u32 v14, vcc_lo, v4, s10
	v_add_co_ci_u32_e64 v15, null, s13, v5, vcc_lo
	global_store_dwordx2 v[14:15], v[18:19], off
	s_waitcnt_vscnt null, 0x0
	global_atomic_cmpswap_x2 v[4:5], v11, v[16:19], s[6:7] offset:24 glc
	s_waitcnt vmcnt(0)
	v_cmp_ne_u64_e32 vcc_lo, v[4:5], v[18:19]
	s_and_b32 exec_lo, exec_lo, vcc_lo
	s_cbranch_execz .LBB14_279
; %bb.360:                              ;   in Loop: Header=BB14_280 Depth=1
	s_mov_b32 s10, 0
.LBB14_361:                             ;   Parent Loop BB14_280 Depth=1
                                        ; =>  This Inner Loop Header: Depth=2
	v_mov_b32_e32 v2, s4
	v_mov_b32_e32 v3, s5
	s_sleep 1
	global_store_dwordx2 v[14:15], v[4:5], off
	s_waitcnt_vscnt null, 0x0
	global_atomic_cmpswap_x2 v[2:3], v11, v[2:5], s[6:7] offset:24 glc
	s_waitcnt vmcnt(0)
	v_cmp_eq_u64_e32 vcc_lo, v[2:3], v[4:5]
	v_mov_b32_e32 v5, v3
	v_mov_b32_e32 v4, v2
	s_or_b32 s10, vcc_lo, s10
	s_andn2_b32 exec_lo, exec_lo, s10
	s_cbranch_execnz .LBB14_361
	s_branch .LBB14_279
.LBB14_362:
	s_or_b32 exec_lo, exec_lo, s15
                                        ; implicit-def: $vgpr37
                                        ; implicit-def: $vgpr36
.LBB14_363:
	s_andn2_saveexec_b32 s14, s14
	s_cbranch_execz .LBB14_391
; %bb.364:
	v_readfirstlane_b32 s4, v36
	v_mov_b32_e32 v10, 0
	v_mov_b32_e32 v11, 0
	v_cmp_eq_u32_e64 s4, s4, v36
	s_and_saveexec_b32 s5, s4
	s_cbranch_execz .LBB14_370
; %bb.365:
	v_mov_b32_e32 v2, 0
	s_mov_b32 s10, exec_lo
	global_load_dwordx2 v[5:6], v2, s[6:7] offset:24 glc dlc
	s_waitcnt vmcnt(0)
	buffer_gl1_inv
	buffer_gl0_inv
	s_clause 0x1
	global_load_dwordx2 v[3:4], v2, s[6:7] offset:40
	global_load_dwordx2 v[10:11], v2, s[6:7]
	s_waitcnt vmcnt(1)
	v_and_b32_e32 v4, v4, v6
	v_and_b32_e32 v3, v3, v5
	v_mul_lo_u32 v4, v4, 24
	v_mul_hi_u32 v7, v3, 24
	v_mul_lo_u32 v3, v3, 24
	v_add_nc_u32_e32 v4, v7, v4
	s_waitcnt vmcnt(0)
	v_add_co_u32 v3, vcc_lo, v10, v3
	v_add_co_ci_u32_e64 v4, null, v11, v4, vcc_lo
	global_load_dwordx2 v[3:4], v[3:4], off glc dlc
	s_waitcnt vmcnt(0)
	global_atomic_cmpswap_x2 v[10:11], v2, v[3:6], s[6:7] offset:24 glc
	s_waitcnt vmcnt(0)
	buffer_gl1_inv
	buffer_gl0_inv
	v_cmpx_ne_u64_e64 v[10:11], v[5:6]
	s_cbranch_execz .LBB14_369
; %bb.366:
	s_mov_b32 s11, 0
	.p2align	6
.LBB14_367:                             ; =>This Inner Loop Header: Depth=1
	s_sleep 1
	s_clause 0x1
	global_load_dwordx2 v[3:4], v2, s[6:7] offset:40
	global_load_dwordx2 v[12:13], v2, s[6:7]
	v_mov_b32_e32 v5, v10
	v_mov_b32_e32 v6, v11
	s_waitcnt vmcnt(1)
	v_and_b32_e32 v3, v3, v5
	v_and_b32_e32 v4, v4, v6
	s_waitcnt vmcnt(0)
	v_mad_u64_u32 v[10:11], null, v3, 24, v[12:13]
	v_mov_b32_e32 v3, v11
	v_mad_u64_u32 v[3:4], null, v4, 24, v[3:4]
	v_mov_b32_e32 v11, v3
	global_load_dwordx2 v[3:4], v[10:11], off glc dlc
	s_waitcnt vmcnt(0)
	global_atomic_cmpswap_x2 v[10:11], v2, v[3:6], s[6:7] offset:24 glc
	s_waitcnt vmcnt(0)
	buffer_gl1_inv
	buffer_gl0_inv
	v_cmp_eq_u64_e32 vcc_lo, v[10:11], v[5:6]
	s_or_b32 s11, vcc_lo, s11
	s_andn2_b32 exec_lo, exec_lo, s11
	s_cbranch_execnz .LBB14_367
; %bb.368:
	s_or_b32 exec_lo, exec_lo, s11
.LBB14_369:
	s_or_b32 exec_lo, exec_lo, s10
.LBB14_370:
	s_or_b32 exec_lo, exec_lo, s5
	v_mov_b32_e32 v2, 0
	v_readfirstlane_b32 s11, v11
	v_readfirstlane_b32 s10, v10
	s_mov_b32 s5, exec_lo
	s_clause 0x1
	global_load_dwordx2 v[12:13], v2, s[6:7] offset:40
	global_load_dwordx4 v[4:7], v2, s[6:7]
	s_waitcnt vmcnt(1)
	v_readfirstlane_b32 s12, v12
	v_readfirstlane_b32 s13, v13
	s_and_b64 s[12:13], s[12:13], s[10:11]
	s_mul_i32 s15, s13, 24
	s_mul_hi_u32 s16, s12, 24
	s_mul_i32 s17, s12, 24
	s_add_i32 s16, s16, s15
	s_waitcnt vmcnt(0)
	v_add_co_u32 v10, vcc_lo, v4, s17
	v_add_co_ci_u32_e64 v11, null, s16, v5, vcc_lo
	s_and_saveexec_b32 s15, s4
	s_cbranch_execz .LBB14_372
; %bb.371:
	v_mov_b32_e32 v12, s5
	v_mov_b32_e32 v13, v2
	;; [unrolled: 1-line block ×4, first 2 shown]
	global_store_dwordx4 v[10:11], v[12:15], off offset:8
.LBB14_372:
	s_or_b32 exec_lo, exec_lo, s15
	s_lshl_b64 s[12:13], s[12:13], 12
	s_mov_b32 s16, 0
	v_add_co_u32 v6, vcc_lo, v6, s12
	v_add_co_ci_u32_e64 v7, null, s13, v7, vcc_lo
	s_mov_b32 s17, s16
	v_readfirstlane_b32 s12, v6
	v_add_co_u32 v6, vcc_lo, v6, v37
	s_mov_b32 s18, s16
	s_mov_b32 s19, s16
	v_and_or_b32 v0, 0xffffff1f, v0, 32
	v_mov_b32_e32 v3, v2
	v_readfirstlane_b32 s13, v7
	v_mov_b32_e32 v12, s16
	v_add_co_ci_u32_e64 v7, null, 0, v7, vcc_lo
	v_mov_b32_e32 v13, s17
	v_mov_b32_e32 v14, s18
	;; [unrolled: 1-line block ×3, first 2 shown]
	global_store_dwordx4 v37, v[0:3], s[12:13]
	global_store_dwordx4 v37, v[12:15], s[12:13] offset:16
	global_store_dwordx4 v37, v[12:15], s[12:13] offset:32
	;; [unrolled: 1-line block ×3, first 2 shown]
	s_and_saveexec_b32 s5, s4
	s_cbranch_execz .LBB14_380
; %bb.373:
	v_mov_b32_e32 v12, 0
	v_mov_b32_e32 v13, s10
	;; [unrolled: 1-line block ×3, first 2 shown]
	s_clause 0x1
	global_load_dwordx2 v[15:16], v12, s[6:7] offset:32 glc dlc
	global_load_dwordx2 v[0:1], v12, s[6:7] offset:40
	s_waitcnt vmcnt(0)
	v_readfirstlane_b32 s12, v0
	v_readfirstlane_b32 s13, v1
	s_and_b64 s[12:13], s[12:13], s[10:11]
	s_mul_i32 s13, s13, 24
	s_mul_hi_u32 s15, s12, 24
	s_mul_i32 s12, s12, 24
	s_add_i32 s15, s15, s13
	v_add_co_u32 v4, vcc_lo, v4, s12
	v_add_co_ci_u32_e64 v5, null, s15, v5, vcc_lo
	s_mov_b32 s12, exec_lo
	global_store_dwordx2 v[4:5], v[15:16], off
	s_waitcnt_vscnt null, 0x0
	global_atomic_cmpswap_x2 v[2:3], v12, v[13:16], s[6:7] offset:32 glc
	s_waitcnt vmcnt(0)
	v_cmpx_ne_u64_e64 v[2:3], v[15:16]
	s_cbranch_execz .LBB14_376
; %bb.374:
	s_mov_b32 s13, 0
.LBB14_375:                             ; =>This Inner Loop Header: Depth=1
	v_mov_b32_e32 v0, s10
	v_mov_b32_e32 v1, s11
	s_sleep 1
	global_store_dwordx2 v[4:5], v[2:3], off
	s_waitcnt_vscnt null, 0x0
	global_atomic_cmpswap_x2 v[0:1], v12, v[0:3], s[6:7] offset:32 glc
	s_waitcnt vmcnt(0)
	v_cmp_eq_u64_e32 vcc_lo, v[0:1], v[2:3]
	v_mov_b32_e32 v3, v1
	v_mov_b32_e32 v2, v0
	s_or_b32 s13, vcc_lo, s13
	s_andn2_b32 exec_lo, exec_lo, s13
	s_cbranch_execnz .LBB14_375
.LBB14_376:
	s_or_b32 exec_lo, exec_lo, s12
	v_mov_b32_e32 v3, 0
	s_mov_b32 s13, exec_lo
	s_mov_b32 s12, exec_lo
	v_mbcnt_lo_u32_b32 v2, s13, 0
	global_load_dwordx2 v[0:1], v3, s[6:7] offset:16
	v_cmpx_eq_u32_e32 0, v2
	s_cbranch_execz .LBB14_378
; %bb.377:
	s_bcnt1_i32_b32 s13, s13
	v_mov_b32_e32 v2, s13
	s_waitcnt vmcnt(0)
	global_atomic_add_x2 v[0:1], v[2:3], off offset:8
.LBB14_378:
	s_or_b32 exec_lo, exec_lo, s12
	s_waitcnt vmcnt(0)
	global_load_dwordx2 v[2:3], v[0:1], off offset:16
	s_waitcnt vmcnt(0)
	v_cmp_eq_u64_e32 vcc_lo, 0, v[2:3]
	s_cbranch_vccnz .LBB14_380
; %bb.379:
	global_load_dword v0, v[0:1], off offset:24
	v_mov_b32_e32 v1, 0
	s_waitcnt vmcnt(0)
	v_readfirstlane_b32 s12, v0
	s_waitcnt_vscnt null, 0x0
	global_store_dwordx2 v[2:3], v[0:1], off
	s_and_b32 m0, s12, 0x7fffff
	s_sendmsg sendmsg(MSG_INTERRUPT)
.LBB14_380:
	s_or_b32 exec_lo, exec_lo, s5
	s_branch .LBB14_384
	.p2align	6
.LBB14_381:                             ;   in Loop: Header=BB14_384 Depth=1
	s_or_b32 exec_lo, exec_lo, s5
	v_readfirstlane_b32 s5, v0
	s_cmp_eq_u32 s5, 0
	s_cbranch_scc1 .LBB14_383
; %bb.382:                              ;   in Loop: Header=BB14_384 Depth=1
	s_sleep 1
	s_cbranch_execnz .LBB14_384
	s_branch .LBB14_386
	.p2align	6
.LBB14_383:
	s_branch .LBB14_386
.LBB14_384:                             ; =>This Inner Loop Header: Depth=1
	v_mov_b32_e32 v0, 1
	s_and_saveexec_b32 s5, s4
	s_cbranch_execz .LBB14_381
; %bb.385:                              ;   in Loop: Header=BB14_384 Depth=1
	global_load_dword v0, v[10:11], off offset:20 glc dlc
	s_waitcnt vmcnt(0)
	buffer_gl1_inv
	buffer_gl0_inv
	v_and_b32_e32 v0, 1, v0
	s_branch .LBB14_381
.LBB14_386:
	global_load_dwordx2 v[0:1], v[6:7], off
	s_and_saveexec_b32 s12, s4
	s_cbranch_execz .LBB14_390
; %bb.387:
	v_mov_b32_e32 v10, 0
	s_clause 0x2
	global_load_dwordx2 v[2:3], v10, s[6:7] offset:40
	global_load_dwordx2 v[13:14], v10, s[6:7] offset:24 glc dlc
	global_load_dwordx2 v[4:5], v10, s[6:7]
	s_waitcnt vmcnt(2)
	v_readfirstlane_b32 s16, v2
	v_readfirstlane_b32 s17, v3
	s_add_u32 s13, s16, 1
	s_addc_u32 s15, s17, 0
	s_add_u32 s4, s13, s10
	s_addc_u32 s5, s15, s11
	s_cmp_eq_u64 s[4:5], 0
	s_cselect_b32 s5, s15, s5
	s_cselect_b32 s4, s13, s4
	v_mov_b32_e32 v12, s5
	s_and_b64 s[10:11], s[4:5], s[16:17]
	v_mov_b32_e32 v11, s4
	s_mul_i32 s11, s11, 24
	s_mul_hi_u32 s13, s10, 24
	s_mul_i32 s10, s10, 24
	s_add_i32 s13, s13, s11
	s_waitcnt vmcnt(0)
	v_add_co_u32 v6, vcc_lo, v4, s10
	v_add_co_ci_u32_e64 v7, null, s13, v5, vcc_lo
	global_store_dwordx2 v[6:7], v[13:14], off
	s_waitcnt_vscnt null, 0x0
	global_atomic_cmpswap_x2 v[4:5], v10, v[11:14], s[6:7] offset:24 glc
	s_waitcnt vmcnt(0)
	v_cmp_ne_u64_e32 vcc_lo, v[4:5], v[13:14]
	s_and_b32 exec_lo, exec_lo, vcc_lo
	s_cbranch_execz .LBB14_390
; %bb.388:
	s_mov_b32 s10, 0
.LBB14_389:                             ; =>This Inner Loop Header: Depth=1
	v_mov_b32_e32 v2, s4
	v_mov_b32_e32 v3, s5
	s_sleep 1
	global_store_dwordx2 v[6:7], v[4:5], off
	s_waitcnt_vscnt null, 0x0
	global_atomic_cmpswap_x2 v[2:3], v10, v[2:5], s[6:7] offset:24 glc
	s_waitcnt vmcnt(0)
	v_cmp_eq_u64_e32 vcc_lo, v[2:3], v[4:5]
	v_mov_b32_e32 v5, v3
	v_mov_b32_e32 v4, v2
	s_or_b32 s10, vcc_lo, s10
	s_andn2_b32 exec_lo, exec_lo, s10
	s_cbranch_execnz .LBB14_389
.LBB14_390:
	s_or_b32 exec_lo, exec_lo, s12
.LBB14_391:
	s_or_b32 exec_lo, exec_lo, s14
	v_mov_b32_e32 v2, v8
	v_mov_b32_e32 v3, v9
	s_mov_b32 s4, 0
.LBB14_392:                             ; =>This Inner Loop Header: Depth=1
	global_load_ubyte v6, v[2:3], off
	v_add_co_u32 v4, vcc_lo, v2, 1
	v_add_co_ci_u32_e64 v5, null, 0, v3, vcc_lo
	v_mov_b32_e32 v2, v4
	v_mov_b32_e32 v3, v5
	s_waitcnt vmcnt(0)
	v_cmp_eq_u16_e32 vcc_lo, 0, v6
	s_or_b32 s4, vcc_lo, s4
	s_andn2_b32 exec_lo, exec_lo, s4
	s_cbranch_execnz .LBB14_392
; %bb.393:
	s_or_b32 exec_lo, exec_lo, s4
	v_sub_nc_u32_e32 v4, v4, v8
	v_mov_b32_e32 v2, v8
	v_mov_b32_e32 v3, v9
	;; [unrolled: 1-line block ×3, first 2 shown]
	s_getpc_b64 s[4:5]
	s_add_u32 s4, s4, __ockl_fprintf_append_string_n@rel32@lo+4
	s_addc_u32 s5, s5, __ockl_fprintf_append_string_n@rel32@hi+12
	v_ashrrev_i32_e32 v5, 31, v4
	s_swappc_b64 s[30:31], s[4:5]
	s_trap 2
.Lfunc_end14:
	.size	__assert_fail, .Lfunc_end14-__assert_fail
                                        ; -- End function
	.set .L__assert_fail.num_vgpr, max(50, .L__ockl_fprintf_append_string_n.num_vgpr)
	.set .L__assert_fail.num_agpr, max(0, .L__ockl_fprintf_append_string_n.num_agpr)
	.set .L__assert_fail.numbered_sgpr, max(34, .L__ockl_fprintf_append_string_n.numbered_sgpr)
	.set .L__assert_fail.num_named_barrier, max(0, .L__ockl_fprintf_append_string_n.num_named_barrier)
	.set .L__assert_fail.private_seg_size, 64+max(.L__ockl_fprintf_append_string_n.private_seg_size)
	.set .L__assert_fail.uses_vcc, or(1, .L__ockl_fprintf_append_string_n.uses_vcc)
	.set .L__assert_fail.uses_flat_scratch, or(0, .L__ockl_fprintf_append_string_n.uses_flat_scratch)
	.set .L__assert_fail.has_dyn_sized_stack, or(0, .L__ockl_fprintf_append_string_n.has_dyn_sized_stack)
	.set .L__assert_fail.has_recursion, or(0, .L__ockl_fprintf_append_string_n.has_recursion)
	.set .L__assert_fail.has_indirect_call, or(0, .L__ockl_fprintf_append_string_n.has_indirect_call)
	.section	.AMDGPU.csdata,"",@progbits
; Function info:
; codeLenInByte = 15452
; TotalNumSgprs: 36
; NumVgprs: 50
; ScratchSize: 64
; MemoryBound: 0
	.section	.text._ZN9rocsolver6v33100L11stedcx_sortIffPfEEviPT0_lT1_iiliPiS6_,"axG",@progbits,_ZN9rocsolver6v33100L11stedcx_sortIffPfEEviPT0_lT1_iiliPiS6_,comdat
	.globl	_ZN9rocsolver6v33100L11stedcx_sortIffPfEEviPT0_lT1_iiliPiS6_ ; -- Begin function _ZN9rocsolver6v33100L11stedcx_sortIffPfEEviPT0_lT1_iiliPiS6_
	.p2align	8
	.type	_ZN9rocsolver6v33100L11stedcx_sortIffPfEEviPT0_lT1_iiliPiS6_,@function
_ZN9rocsolver6v33100L11stedcx_sortIffPfEEviPT0_lT1_iiliPiS6_: ; @_ZN9rocsolver6v33100L11stedcx_sortIffPfEEviPT0_lT1_iiliPiS6_
; %bb.0:
	s_add_u32 s6, s6, s10
	s_mov_b32 s32, 0
	s_addc_u32 s7, s7, 0
	s_setreg_b32 hwreg(HW_REG_FLAT_SCR_LO), s6
	s_setreg_b32 hwreg(HW_REG_FLAT_SCR_HI), s7
	s_load_dword s33, s[4:5], 0x30
	s_add_u32 s0, s0, s10
	s_addc_u32 s1, s1, 0
	s_waitcnt lgkmcnt(0)
	s_cmp_ge_i32 s9, s33
	s_cbranch_scc1 .LBB15_70
; %bb.1:
	s_mov_b32 s20, s9
	s_clause 0x3
	s_load_dword s34, s[4:5], 0x0
	s_load_dwordx4 s[8:11], s[4:5], 0x38
	s_load_dwordx8 s[12:19], s[4:5], 0x8
	s_load_dwordx2 s[22:23], s[4:5], 0x28
	s_add_u32 s24, s4, 0x48
	s_addc_u32 s25, s5, 0
	s_load_dword s35, s[4:5], 0x50
	v_or3_b32 v3, v1, v2, v0
	v_mov_b32_e32 v4, 0
	s_mov_b32 s27, 0
	s_mov_b32 s47, 0
                                        ; implicit-def: $sgpr48
                                        ; implicit-def: $sgpr44
                                        ; implicit-def: $sgpr49
                                        ; implicit-def: $sgpr50
	s_waitcnt lgkmcnt(0)
	s_mul_hi_i32 s7, s34, s20
	s_mul_i32 s6, s34, s20
	s_mov_b32 s45, s19
	s_lshl_b64 s[6:7], s[6:7], 2
	s_add_u32 s36, s8, s6
	s_addc_u32 s37, s9, s7
	s_cmp_lg_u64 s[16:17], 0
	s_mov_b32 s6, s18
	s_cselect_b32 s38, -1, 0
	s_ashr_i32 s7, s18, 31
	s_lshl_b64 s[6:7], s[6:7], 2
	s_add_u32 s39, s16, s6
	s_addc_u32 s40, s17, s7
	s_cmp_lg_u64 s[10:11], 0
	v_cmp_eq_u32_e64 s6, 0, v3
	s_cselect_b32 s41, -1, 0
	s_cmp_eq_u64 s[12:13], 0
	s_cselect_b32 s42, -1, 0
	s_cmp_lg_u64 s[8:9], 0
	s_cselect_b32 s43, -1, 0
	s_min_i32 s7, s34, s19
	s_cmp_gt_i32 s7, 0
	s_cselect_b32 s7, -1, 0
	s_and_b32 s46, s7, s43
	s_branch .LBB15_4
.LBB15_2:                               ;   in Loop: Header=BB15_4 Depth=1
	s_or_b32 exec_lo, exec_lo, s8
	s_andn2_b32 s7, s50, exec_lo
	s_and_b32 s8, s16, exec_lo
	s_andn2_b32 s49, s49, exec_lo
	s_or_b32 s50, s7, s8
	s_orn2_b32 s52, s21, exec_lo
.LBB15_3:                               ;   in Loop: Header=BB15_4 Depth=1
	s_or_b32 exec_lo, exec_lo, s9
	s_and_b32 s7, exec_lo, s52
	s_or_b32 s47, s7, s47
	s_andn2_b32 s7, s44, exec_lo
	s_and_b32 s8, s50, exec_lo
	s_andn2_b32 s9, s48, exec_lo
	s_and_b32 s16, s49, exec_lo
	s_or_b32 s44, s7, s8
	s_or_b32 s48, s9, s16
	s_andn2_b32 exec_lo, exec_lo, s47
	s_cbranch_execz .LBB15_66
.LBB15_4:                               ; =>This Loop Header: Depth=1
                                        ;     Child Loop BB15_11 Depth 2
                                        ;     Child Loop BB15_15 Depth 2
                                        ;       Child Loop BB15_18 Depth 3
                                        ;         Child Loop BB15_22 Depth 4
                                        ;     Child Loop BB15_33 Depth 2
                                        ;     Child Loop BB15_47 Depth 2
                                        ;       Child Loop BB15_49 Depth 3
                                        ;         Child Loop BB15_54 Depth 4
                                        ;     Child Loop BB15_58 Depth 2
	s_ashr_i32 s21, s20, 31
	s_andn2_b32 vcc_lo, exec_lo, s38
	s_mov_b64 s[16:17], 0
	s_cbranch_vccnz .LBB15_6
; %bb.5:                                ;   in Loop: Header=BB15_4 Depth=1
	s_mul_i32 s7, s22, s21
	s_mul_hi_u32 s8, s22, s20
	s_mul_i32 s9, s23, s20
	s_add_i32 s7, s8, s7
	s_mul_i32 s8, s22, s20
	s_add_i32 s9, s7, s9
	s_lshl_b64 s[8:9], s[8:9], 2
	s_add_u32 s16, s39, s8
	s_addc_u32 s17, s40, s9
.LBB15_6:                               ;   in Loop: Header=BB15_4 Depth=1
	s_andn2_b32 vcc_lo, exec_lo, s41
	s_mov_b32 s51, s34
	s_cbranch_vccnz .LBB15_8
; %bb.7:                                ;   in Loop: Header=BB15_4 Depth=1
	s_lshl_b64 s[8:9], s[20:21], 2
	s_add_u32 s8, s10, s8
	s_addc_u32 s9, s11, s9
	global_load_dword v3, v4, s[8:9]
	s_waitcnt vmcnt(0)
	v_readfirstlane_b32 s51, v3
.LBB15_8:                               ;   in Loop: Header=BB15_4 Depth=1
	s_cmp_lt_i32 s51, 1
	s_mov_b32 s52, -1
	s_cselect_b32 s7, -1, 0
	s_or_b32 s7, s42, s7
	s_barrier
	s_and_b32 vcc_lo, exec_lo, s7
	s_mov_b32 s7, -1
	buffer_gl0_inv
	s_cbranch_vccnz .LBB15_42
; %bb.9:                                ;   in Loop: Header=BB15_4 Depth=1
	s_load_dwordx2 s[8:9], s[24:25], 0xc
	s_waitcnt lgkmcnt(0)
	s_barrier
	buffer_gl0_inv
	s_lshr_b32 s7, s8, 16
	s_and_b32 s8, s8, 0xffff
	s_mul_i32 s53, s7, s8
	v_mul_u32_u24_e32 v5, s8, v1
	v_mul_lo_u32 v3, s53, v2
	s_and_b32 s7, s9, 0xffff
	s_mul_i32 s53, s53, s7
	v_add3_u32 v5, v5, v0, v3
	v_cmp_gt_u32_e32 vcc_lo, s51, v5
	s_and_b32 s8, s43, vcc_lo
	s_and_saveexec_b32 s7, s8
	s_cbranch_execz .LBB15_12
; %bb.10:                               ;   in Loop: Header=BB15_4 Depth=1
	v_mov_b32_e32 v3, v5
	s_mov_b32 s8, 0
.LBB15_11:                              ;   Parent Loop BB15_4 Depth=1
                                        ; =>  This Inner Loop Header: Depth=2
	v_lshlrev_b64 v[6:7], 2, v[3:4]
	v_add_co_u32 v6, vcc_lo, s36, v6
	v_add_co_ci_u32_e64 v7, null, s37, v7, vcc_lo
	global_store_dword v[6:7], v3, off
	v_add_nc_u32_e32 v3, s53, v3
	v_cmp_le_u32_e32 vcc_lo, s51, v3
	s_or_b32 s8, vcc_lo, s8
	s_andn2_b32 exec_lo, exec_lo, s8
	s_cbranch_execnz .LBB15_11
.LBB15_12:                              ;   in Loop: Header=BB15_4 Depth=1
	s_or_b32 exec_lo, exec_lo, s7
	s_mul_i32 s7, s14, s21
	s_mul_hi_u32 s8, s14, s20
	s_mul_i32 s9, s15, s20
	s_add_i32 s7, s8, s7
	s_mul_i32 s8, s14, s20
	s_add_i32 s9, s7, s9
	s_waitcnt_vscnt null, 0x0
	s_lshl_b64 s[8:9], s[8:9], 2
	s_barrier
	s_add_u32 s21, s12, s8
	s_addc_u32 s54, s13, s9
	buffer_gl0_inv
	s_and_saveexec_b32 s7, s6
	s_cbranch_execz .LBB15_29
; %bb.13:                               ;   in Loop: Header=BB15_4 Depth=1
	s_mov_b32 s8, 0
	s_branch .LBB15_15
.LBB15_14:                              ;   in Loop: Header=BB15_15 Depth=2
	s_add_i32 s8, s8, 1
	s_cmp_eq_u32 s8, 8
	s_cbranch_scc1 .LBB15_29
.LBB15_15:                              ;   Parent Loop BB15_4 Depth=1
                                        ; =>  This Loop Header: Depth=2
                                        ;       Child Loop BB15_18 Depth 3
                                        ;         Child Loop BB15_22 Depth 4
	s_mov_b32 s9, s27
	s_getpc_b64 s[18:19]
	s_add_u32 s18, s18, __const._ZN9rocsolver6v33100L20shell_sort_ascendingIfiEEvT0_PT_PS2_.gaps@rel32@lo+4
	s_addc_u32 s19, s19, __const._ZN9rocsolver6v33100L20shell_sort_ascendingIfiEEvT0_PT_PS2_.gaps@rel32@hi+12
	s_lshl_b64 s[28:29], s[8:9], 2
	s_add_u32 s18, s18, s28
	s_addc_u32 s19, s19, s29
	s_load_dword s9, s[18:19], 0x0
	s_waitcnt lgkmcnt(0)
	s_cmp_ge_i32 s9, s51
	s_cbranch_scc1 .LBB15_14
; %bb.16:                               ;   in Loop: Header=BB15_15 Depth=2
	s_mov_b32 s55, 0
	s_mov_b32 s18, s9
	s_branch .LBB15_18
.LBB15_17:                              ;   in Loop: Header=BB15_18 Depth=3
	s_add_i32 s18, s18, 1
	s_add_i32 s55, s55, 1
	s_cmp_ge_i32 s18, s51
	s_cbranch_scc1 .LBB15_14
.LBB15_18:                              ;   Parent Loop BB15_4 Depth=1
                                        ;     Parent Loop BB15_15 Depth=2
                                        ; =>    This Loop Header: Depth=3
                                        ;         Child Loop BB15_22 Depth 4
	s_ashr_i32 s19, s18, 31
	s_lshl_b64 s[28:29], s[18:19], 2
	s_add_u32 s30, s21, s28
	s_addc_u32 s31, s54, s29
	s_andn2_b32 vcc_lo, exec_lo, s43
	global_load_dword v3, v4, s[30:31]
	s_cbranch_vccnz .LBB15_20
; %bb.19:                               ;   in Loop: Header=BB15_18 Depth=3
	s_add_u32 s28, s36, s28
	s_addc_u32 s29, s37, s29
	global_load_dword v6, v4, s[28:29]
	s_cmp_lt_i32 s18, s9
	s_mov_b64 s[28:29], s[18:19]
	s_mov_b32 s26, s55
	s_cbranch_scc0 .LBB15_22
	s_branch .LBB15_27
.LBB15_20:                              ;   in Loop: Header=BB15_18 Depth=3
	v_mov_b32_e32 v6, 0
	s_cmp_lt_i32 s18, s9
	s_mov_b64 s[28:29], s[18:19]
	s_mov_b32 s26, s55
	s_cbranch_scc0 .LBB15_22
	s_branch .LBB15_27
	.p2align	6
.LBB15_21:                              ;   in Loop: Header=BB15_22 Depth=4
                                        ; implicit-def: $sgpr19
	s_and_b32 vcc_lo, exec_lo, s29
	s_mov_b32 s26, s19
	s_cbranch_vccnz .LBB15_26
.LBB15_22:                              ;   Parent Loop BB15_4 Depth=1
                                        ;     Parent Loop BB15_15 Depth=2
                                        ;       Parent Loop BB15_18 Depth=3
                                        ; =>      This Inner Loop Header: Depth=4
	s_lshl_b64 s[30:31], s[26:27], 2
	s_add_i32 s28, s9, s26
	s_add_u32 s56, s21, s30
	s_addc_u32 s57, s54, s31
	s_mov_b32 s29, -1
	global_load_dword v7, v4, s[56:57]
	s_waitcnt vmcnt(0)
	v_cmp_ngt_f32_e32 vcc_lo, v7, v3
	s_cbranch_vccnz .LBB15_21
; %bb.23:                               ;   in Loop: Header=BB15_22 Depth=4
	s_ashr_i32 s29, s28, 31
	s_lshl_b64 s[28:29], s[28:29], 2
	s_add_u32 s56, s21, s28
	s_addc_u32 s57, s54, s29
	s_andn2_b32 vcc_lo, exec_lo, s43
	global_store_dword v4, v7, s[56:57]
	s_cbranch_vccnz .LBB15_25
; %bb.24:                               ;   in Loop: Header=BB15_22 Depth=4
	s_add_u32 s28, s36, s28
	s_addc_u32 s29, s37, s29
	s_add_u32 s30, s36, s30
	s_addc_u32 s31, s37, s31
	global_load_dword v7, v4, s[30:31]
	s_waitcnt vmcnt(0)
	global_store_dword v4, v7, s[28:29]
.LBB15_25:                              ;   in Loop: Header=BB15_22 Depth=4
	s_sub_i32 s19, s26, s9
	s_cmp_lt_i32 s26, s9
	s_mov_b32 s28, s26
	s_cselect_b32 s29, -1, 0
	s_and_b32 vcc_lo, exec_lo, s29
	s_mov_b32 s26, s19
	s_cbranch_vccz .LBB15_22
.LBB15_26:                              ;   in Loop: Header=BB15_18 Depth=3
	s_ashr_i32 s29, s28, 31
.LBB15_27:                              ;   in Loop: Header=BB15_18 Depth=3
	s_lshl_b64 s[28:29], s[28:29], 2
	s_add_u32 s30, s21, s28
	s_addc_u32 s31, s54, s29
	s_andn2_b32 vcc_lo, exec_lo, s43
	s_waitcnt vmcnt(0)
	global_store_dword v4, v3, s[30:31]
	s_cbranch_vccnz .LBB15_17
; %bb.28:                               ;   in Loop: Header=BB15_18 Depth=3
	s_add_u32 s28, s36, s28
	s_addc_u32 s29, s37, s29
	global_store_dword v4, v6, s[28:29]
	s_branch .LBB15_17
.LBB15_29:                              ;   in Loop: Header=BB15_4 Depth=1
	s_or_b32 exec_lo, exec_lo, s7
	s_cmp_lt_u32 s51, 2
	s_waitcnt_vscnt null, 0x0
	s_cselect_b32 s18, -1, 0
	s_barrier
	s_and_b32 vcc_lo, exec_lo, s18
	buffer_gl0_inv
	s_cbranch_vccnz .LBB15_39
; %bb.30:                               ;   in Loop: Header=BB15_4 Depth=1
	s_add_i32 s9, s51, -1
	s_mov_b32 s18, -1
	s_mov_b32 s8, exec_lo
	v_cmpx_gt_u32_e64 s9, v5
	s_cbranch_execz .LBB15_38
; %bb.31:                               ;   in Loop: Header=BB15_4 Depth=1
	v_mov_b32_e32 v3, v5
	s_mov_b32 s18, 0
                                        ; implicit-def: $sgpr19
	s_inst_prefetch 0x1
	s_branch .LBB15_33
	.p2align	6
.LBB15_32:                              ;   in Loop: Header=BB15_33 Depth=2
	s_or_b32 exec_lo, exec_lo, s29
	s_xor_b32 s26, s28, -1
	s_and_b32 s7, exec_lo, s7
	s_or_b32 s18, s7, s18
	s_andn2_b32 s7, s19, exec_lo
	s_and_b32 s19, s26, exec_lo
	s_or_b32 s19, s7, s19
	s_andn2_b32 exec_lo, exec_lo, s18
	s_cbranch_execz .LBB15_37
.LBB15_33:                              ;   Parent Loop BB15_4 Depth=1
                                        ; =>  This Inner Loop Header: Depth=2
	v_lshlrev_b64 v[5:6], 2, v[3:4]
	s_mov_b32 s28, exec_lo
	v_add_co_u32 v5, vcc_lo, s21, v5
	v_add_co_ci_u32_e64 v6, null, s54, v6, vcc_lo
	global_load_dword v7, v[5:6], off
	s_waitcnt vmcnt(0)
	v_cmp_u_f32_e64 s26, v7, v7
	v_cmpx_o_f32_e32 v7, v7
	s_cbranch_execz .LBB15_35
; %bb.34:                               ;   in Loop: Header=BB15_33 Depth=2
	global_load_dword v5, v[5:6], off offset:4
	s_andn2_b32 s26, s26, exec_lo
	s_waitcnt vmcnt(0)
	v_cmp_u_f32_e32 vcc_lo, v5, v5
	v_cmp_le_f32_e64 s7, v7, v5
	s_or_b32 s7, vcc_lo, s7
	s_and_b32 s7, s7, exec_lo
	s_or_b32 s26, s26, s7
.LBB15_35:                              ;   in Loop: Header=BB15_33 Depth=2
	s_or_b32 exec_lo, exec_lo, s28
	s_mov_b32 s7, -1
	s_mov_b32 s28, -1
	s_and_saveexec_b32 s29, s26
	s_cbranch_execz .LBB15_32
; %bb.36:                               ;   in Loop: Header=BB15_33 Depth=2
	v_add_nc_u32_e32 v3, s53, v3
	s_xor_b32 s28, exec_lo, -1
	v_cmp_le_u32_e32 vcc_lo, s9, v3
	s_orn2_b32 s7, vcc_lo, exec_lo
	s_branch .LBB15_32
.LBB15_37:                              ;   in Loop: Header=BB15_4 Depth=1
	s_inst_prefetch 0x2
	s_or_b32 exec_lo, exec_lo, s18
	s_orn2_b32 s18, s19, exec_lo
.LBB15_38:                              ;   in Loop: Header=BB15_4 Depth=1
	s_or_b32 exec_lo, exec_lo, s8
.LBB15_39:                              ;   in Loop: Header=BB15_4 Depth=1
	s_mov_b32 s7, 0
	s_and_saveexec_b32 s8, s18
	s_cbranch_execz .LBB15_41
; %bb.40:                               ;   in Loop: Header=BB15_4 Depth=1
	s_mov_b32 s7, exec_lo
	s_barrier
	buffer_gl0_inv
.LBB15_41:                              ;   in Loop: Header=BB15_4 Depth=1
	s_or_b32 exec_lo, exec_lo, s8
.LBB15_42:                              ;   in Loop: Header=BB15_4 Depth=1
	s_andn2_b32 s50, s50, exec_lo
	s_or_b32 s49, s49, exec_lo
	s_and_saveexec_b32 s9, s7
	s_cbranch_execz .LBB15_3
; %bb.43:                               ;   in Loop: Header=BB15_4 Depth=1
	s_cmp_lg_u64 s[16:17], 0
	s_mov_b32 s21, -1
	s_cselect_b32 s7, -1, 0
	s_and_b32 s7, s7, s46
	s_barrier
	s_and_b32 vcc_lo, exec_lo, s7
	s_mov_b32 s7, -1
	buffer_gl0_inv
	s_cbranch_vccz .LBB15_64
; %bb.44:                               ;   in Loop: Header=BB15_4 Depth=1
	s_load_dwordx2 s[18:19], s[24:25], 0xc
	s_waitcnt lgkmcnt(0)
	s_lshr_b32 s7, s18, 16
	s_and_b32 s8, s18, 0xffff
	s_mul_i32 s52, s7, s8
	v_mul_u32_u24_e32 v5, s8, v1
	v_mul_lo_u32 v3, s52, v2
	s_and_b32 s7, s19, 0xffff
	s_cmp_lt_i32 s51, 0
	s_mul_i32 s52, s52, s7
	s_cselect_b32 s51, s34, s51
	s_cmp_eq_u32 s51, 0
	v_add3_u32 v5, v5, v0, v3
	s_cbranch_scc1 .LBB15_55
; %bb.45:                               ;   in Loop: Header=BB15_4 Depth=1
	v_cmp_eq_u32_e64 s7, 0, v5
	v_cmp_gt_u32_e64 s8, s34, v5
	s_mov_b32 s26, 0
	s_branch .LBB15_47
.LBB15_46:                              ;   in Loop: Header=BB15_47 Depth=2
	s_add_i32 s26, s26, 1
	s_cmp_eq_u32 s26, s51
	s_cbranch_scc1 .LBB15_55
.LBB15_47:                              ;   Parent Loop BB15_4 Depth=1
                                        ; =>  This Loop Header: Depth=2
                                        ;       Child Loop BB15_49 Depth 3
                                        ;         Child Loop BB15_54 Depth 4
	s_lshl_b64 s[18:19], s[26:27], 2
	s_add_u32 s18, s36, s18
	s_addc_u32 s19, s37, s19
	s_barrier
	s_branch .LBB15_49
.LBB15_48:                              ;   in Loop: Header=BB15_49 Depth=3
	s_or_b32 exec_lo, exec_lo, s30
	s_waitcnt_vscnt null, 0x0
	s_barrier
.LBB15_49:                              ;   Parent Loop BB15_4 Depth=1
                                        ;     Parent Loop BB15_47 Depth=2
                                        ; =>    This Loop Header: Depth=3
                                        ;         Child Loop BB15_54 Depth 4
	buffer_gl0_inv
	global_load_dword v3, v4, s[18:19]
	s_waitcnt vmcnt(0)
	v_cmp_eq_u32_e32 vcc_lo, s26, v3
	v_readfirstlane_b32 s28, v3
	s_cbranch_vccnz .LBB15_46
; %bb.50:                               ;   in Loop: Header=BB15_49 Depth=3
	s_ashr_i32 s29, s28, 31
	s_lshl_b64 s[30:31], s[28:29], 2
	s_add_u32 s30, s36, s30
	s_addc_u32 s31, s37, s31
	global_load_dword v3, v4, s[30:31]
	s_waitcnt vmcnt(0)
	s_barrier
	buffer_gl0_inv
	v_readfirstlane_b32 s53, v3
	s_and_saveexec_b32 s54, s7
	s_cbranch_execz .LBB15_52
; %bb.51:                               ;   in Loop: Header=BB15_49 Depth=3
	v_mov_b32_e32 v3, s28
	v_mov_b32_e32 v6, s53
	global_store_dword v4, v3, s[30:31]
	global_store_dword v4, v6, s[18:19]
.LBB15_52:                              ;   in Loop: Header=BB15_49 Depth=3
	s_or_b32 exec_lo, exec_lo, s54
	s_waitcnt_vscnt null, 0x0
	s_barrier
	buffer_gl0_inv
	s_and_saveexec_b32 s30, s8
	s_cbranch_execz .LBB15_48
; %bb.53:                               ;   in Loop: Header=BB15_49 Depth=3
	s_mul_i32 s29, s29, s45
	s_mul_hi_u32 s31, s28, s45
	s_mul_i32 s28, s28, s45
	s_add_i32 s29, s31, s29
	s_ashr_i32 s31, s53, 31
	s_mul_hi_u32 s54, s53, s45
	s_mul_i32 s31, s31, s45
	s_lshl_b64 s[28:29], s[28:29], 2
	s_add_i32 s55, s54, s31
	s_mul_i32 s54, s53, s45
	s_add_u32 s28, s16, s28
	s_addc_u32 s29, s17, s29
	s_lshl_b64 s[54:55], s[54:55], 2
	v_mov_b32_e32 v3, v5
	s_add_u32 s31, s16, s54
	s_addc_u32 s53, s17, s55
	s_mov_b32 s54, 0
	.p2align	6
.LBB15_54:                              ;   Parent Loop BB15_4 Depth=1
                                        ;     Parent Loop BB15_47 Depth=2
                                        ;       Parent Loop BB15_49 Depth=3
                                        ; =>      This Inner Loop Header: Depth=4
	v_lshlrev_b64 v[6:7], 2, v[3:4]
	v_add_nc_u32_e32 v3, s52, v3
	v_add_co_u32 v8, vcc_lo, s31, v6
	v_add_co_ci_u32_e64 v9, null, s53, v7, vcc_lo
	v_add_co_u32 v6, vcc_lo, s28, v6
	v_add_co_ci_u32_e64 v7, null, s29, v7, vcc_lo
	s_clause 0x1
	global_load_dword v10, v[8:9], off
	global_load_dword v11, v[6:7], off
	v_cmp_le_u32_e32 vcc_lo, s34, v3
	s_waitcnt vmcnt(1)
	global_store_dword v[6:7], v10, off
	s_waitcnt vmcnt(0)
	global_store_dword v[8:9], v11, off
	s_or_b32 s54, vcc_lo, s54
	s_andn2_b32 exec_lo, exec_lo, s54
	s_cbranch_execnz .LBB15_54
	s_branch .LBB15_48
.LBB15_55:                              ;   in Loop: Header=BB15_4 Depth=1
	s_mov_b32 s8, -1
	s_mov_b32 s7, exec_lo
	s_barrier
	buffer_gl0_inv
	v_cmpx_gt_u32_e64 s51, v5
	s_cbranch_execz .LBB15_61
; %bb.56:                               ;   in Loop: Header=BB15_4 Depth=1
	v_mov_b32_e32 v3, v5
	s_mov_b32 s8, 0
                                        ; implicit-def: $sgpr16
                                        ; implicit-def: $sgpr18
                                        ; implicit-def: $sgpr17
	s_inst_prefetch 0x1
	s_branch .LBB15_58
	.p2align	6
.LBB15_57:                              ;   in Loop: Header=BB15_58 Depth=2
	s_or_b32 exec_lo, exec_lo, s19
	s_xor_b32 s19, s17, -1
	s_and_b32 s26, exec_lo, s18
	s_or_b32 s8, s26, s8
	s_andn2_b32 s16, s16, exec_lo
	s_and_b32 s19, s19, exec_lo
	s_or_b32 s16, s16, s19
	s_andn2_b32 exec_lo, exec_lo, s8
	s_cbranch_execz .LBB15_60
.LBB15_58:                              ;   Parent Loop BB15_4 Depth=1
                                        ; =>  This Inner Loop Header: Depth=2
	v_lshlrev_b64 v[5:6], 2, v[3:4]
	s_or_b32 s17, s17, exec_lo
	s_or_b32 s18, s18, exec_lo
	s_mov_b32 s19, exec_lo
	v_add_co_u32 v5, vcc_lo, s36, v5
	v_add_co_ci_u32_e64 v6, null, s37, v6, vcc_lo
	global_load_dword v5, v[5:6], off
	s_waitcnt vmcnt(0)
	v_cmpx_eq_u32_e64 v3, v5
	s_cbranch_execz .LBB15_57
; %bb.59:                               ;   in Loop: Header=BB15_58 Depth=2
	v_add_nc_u32_e32 v3, s52, v3
	s_andn2_b32 s18, s18, exec_lo
	s_andn2_b32 s17, s17, exec_lo
	v_cmp_le_u32_e32 vcc_lo, s51, v3
	s_and_b32 s26, vcc_lo, exec_lo
	s_or_b32 s18, s18, s26
	s_branch .LBB15_57
.LBB15_60:                              ;   in Loop: Header=BB15_4 Depth=1
	s_inst_prefetch 0x2
	s_or_b32 exec_lo, exec_lo, s8
	s_orn2_b32 s8, s16, exec_lo
.LBB15_61:                              ;   in Loop: Header=BB15_4 Depth=1
	s_or_b32 exec_lo, exec_lo, s7
	s_mov_b32 s7, 0
	s_and_saveexec_b32 s16, s8
	s_cbranch_execz .LBB15_63
; %bb.62:                               ;   in Loop: Header=BB15_4 Depth=1
	s_mov_b32 s7, exec_lo
	s_barrier
	buffer_gl0_inv
.LBB15_63:                              ;   in Loop: Header=BB15_4 Depth=1
	s_or_b32 exec_lo, exec_lo, s16
.LBB15_64:                              ;   in Loop: Header=BB15_4 Depth=1
	s_mov_b32 s16, -1
	s_and_saveexec_b32 s8, s7
	s_cbranch_execz .LBB15_2
; %bb.65:                               ;   in Loop: Header=BB15_4 Depth=1
	s_add_i32 s20, s20, s35
	s_cmp_ge_i32 s20, s33
	s_barrier
	s_cselect_b32 s7, -1, 0
	s_xor_b32 s16, exec_lo, -1
	s_orn2_b32 s21, s7, exec_lo
	buffer_gl0_inv
	s_branch .LBB15_2
.LBB15_66:
	s_or_b32 exec_lo, exec_lo, s47
	s_xor_b32 s6, s48, -1
	s_mov_b32 s25, 0
	s_and_saveexec_b32 s7, s6
	s_xor_b32 s28, exec_lo, s7
	s_cbranch_execnz .LBB15_71
; %bb.67:
	s_andn2_saveexec_b32 s26, s28
	s_cbranch_execnz .LBB15_74
.LBB15_68:
	s_or_b32 exec_lo, exec_lo, s26
	s_and_saveexec_b32 s4, s25
.LBB15_69:
	; divergent unreachable
.LBB15_70:
	s_endpgm
.LBB15_71:
	s_mov_b32 s6, 0
	s_and_saveexec_b32 s7, s44
	s_xor_b32 s25, exec_lo, s7
	s_cbranch_execz .LBB15_73
; %bb.72:
	s_add_u32 s8, s4, 0x48
	s_addc_u32 s9, s5, 0
	s_getpc_b64 s[6:7]
	s_add_u32 s6, s6, .str.8@rel32@lo+4
	s_addc_u32 s7, s7, .str.8@rel32@hi+12
	s_getpc_b64 s[10:11]
	s_add_u32 s10, s10, __PRETTY_FUNCTION__._ZN9rocsolver6v33100L12permute_swapIfiEEvT0_PT_S2_PS2_S2_@rel32@lo+4
	s_addc_u32 s11, s11, __PRETTY_FUNCTION__._ZN9rocsolver6v33100L12permute_swapIfiEEvT0_PT_S2_PS2_S2_@rel32@hi+12
	v_mov_b32_e32 v0, s6
	v_mov_b32_e32 v1, s7
	;; [unrolled: 1-line block ×5, first 2 shown]
	s_getpc_b64 s[12:13]
	s_add_u32 s12, s12, __assert_fail@rel32@lo+4
	s_addc_u32 s13, s13, __assert_fail@rel32@hi+12
	s_mov_b64 s[26:27], s[4:5]
	s_swappc_b64 s[30:31], s[12:13]
	s_mov_b64 s[4:5], s[26:27]
	s_mov_b32 s6, exec_lo
.LBB15_73:
	s_or_b32 exec_lo, exec_lo, s25
	s_and_b32 s25, s6, exec_lo
	s_andn2_saveexec_b32 s26, s28
	s_cbranch_execz .LBB15_68
.LBB15_74:
	s_add_u32 s8, s4, 0x48
	s_addc_u32 s9, s5, 0
	s_getpc_b64 s[4:5]
	s_add_u32 s4, s4, .str.5@rel32@lo+4
	s_addc_u32 s5, s5, .str.5@rel32@hi+12
	s_getpc_b64 s[6:7]
	s_add_u32 s6, s6, __PRETTY_FUNCTION__._ZN9rocsolver6v33100L20shell_sort_ascendingIfiEEvT0_PT_PS2_@rel32@lo+4
	s_addc_u32 s7, s7, __PRETTY_FUNCTION__._ZN9rocsolver6v33100L20shell_sort_ascendingIfiEEvT0_PT_PS2_@rel32@hi+12
	v_mov_b32_e32 v0, s4
	v_mov_b32_e32 v1, s5
	;; [unrolled: 1-line block ×5, first 2 shown]
	s_getpc_b64 s[10:11]
	s_add_u32 s10, s10, __assert_fail@rel32@lo+4
	s_addc_u32 s11, s11, __assert_fail@rel32@hi+12
	s_swappc_b64 s[30:31], s[10:11]
	s_or_b32 s25, s25, exec_lo
	s_or_b32 exec_lo, exec_lo, s26
	s_and_saveexec_b32 s4, s25
	s_cbranch_execnz .LBB15_69
	s_branch .LBB15_70
	.section	.rodata,"a",@progbits
	.p2align	6, 0x0
	.amdhsa_kernel _ZN9rocsolver6v33100L11stedcx_sortIffPfEEviPT0_lT1_iiliPiS6_
		.amdhsa_group_segment_fixed_size 0
		.amdhsa_private_segment_fixed_size 64
		.amdhsa_kernarg_size 328
		.amdhsa_user_sgpr_count 8
		.amdhsa_user_sgpr_private_segment_buffer 1
		.amdhsa_user_sgpr_dispatch_ptr 0
		.amdhsa_user_sgpr_queue_ptr 0
		.amdhsa_user_sgpr_kernarg_segment_ptr 1
		.amdhsa_user_sgpr_dispatch_id 0
		.amdhsa_user_sgpr_flat_scratch_init 1
		.amdhsa_user_sgpr_private_segment_size 0
		.amdhsa_wavefront_size32 1
		.amdhsa_uses_dynamic_stack 0
		.amdhsa_system_sgpr_private_segment_wavefront_offset 1
		.amdhsa_system_sgpr_workgroup_id_x 1
		.amdhsa_system_sgpr_workgroup_id_y 0
		.amdhsa_system_sgpr_workgroup_id_z 1
		.amdhsa_system_sgpr_workgroup_info 0
		.amdhsa_system_vgpr_workitem_id 2
		.amdhsa_next_free_vgpr 50
		.amdhsa_next_free_sgpr 58
		.amdhsa_reserve_vcc 1
		.amdhsa_reserve_flat_scratch 1
		.amdhsa_float_round_mode_32 0
		.amdhsa_float_round_mode_16_64 0
		.amdhsa_float_denorm_mode_32 3
		.amdhsa_float_denorm_mode_16_64 3
		.amdhsa_dx10_clamp 1
		.amdhsa_ieee_mode 1
		.amdhsa_fp16_overflow 0
		.amdhsa_workgroup_processor_mode 1
		.amdhsa_memory_ordered 1
		.amdhsa_forward_progress 1
		.amdhsa_shared_vgpr_count 0
		.amdhsa_exception_fp_ieee_invalid_op 0
		.amdhsa_exception_fp_denorm_src 0
		.amdhsa_exception_fp_ieee_div_zero 0
		.amdhsa_exception_fp_ieee_overflow 0
		.amdhsa_exception_fp_ieee_underflow 0
		.amdhsa_exception_fp_ieee_inexact 0
		.amdhsa_exception_int_div_zero 0
	.end_amdhsa_kernel
	.section	.text._ZN9rocsolver6v33100L11stedcx_sortIffPfEEviPT0_lT1_iiliPiS6_,"axG",@progbits,_ZN9rocsolver6v33100L11stedcx_sortIffPfEEviPT0_lT1_iiliPiS6_,comdat
.Lfunc_end15:
	.size	_ZN9rocsolver6v33100L11stedcx_sortIffPfEEviPT0_lT1_iiliPiS6_, .Lfunc_end15-_ZN9rocsolver6v33100L11stedcx_sortIffPfEEviPT0_lT1_iiliPiS6_
                                        ; -- End function
	.set _ZN9rocsolver6v33100L11stedcx_sortIffPfEEviPT0_lT1_iiliPiS6_.num_vgpr, max(12, .L__assert_fail.num_vgpr)
	.set _ZN9rocsolver6v33100L11stedcx_sortIffPfEEviPT0_lT1_iiliPiS6_.num_agpr, max(0, .L__assert_fail.num_agpr)
	.set _ZN9rocsolver6v33100L11stedcx_sortIffPfEEviPT0_lT1_iiliPiS6_.numbered_sgpr, max(58, .L__assert_fail.numbered_sgpr)
	.set _ZN9rocsolver6v33100L11stedcx_sortIffPfEEviPT0_lT1_iiliPiS6_.num_named_barrier, max(0, .L__assert_fail.num_named_barrier)
	.set _ZN9rocsolver6v33100L11stedcx_sortIffPfEEviPT0_lT1_iiliPiS6_.private_seg_size, 0+max(.L__assert_fail.private_seg_size)
	.set _ZN9rocsolver6v33100L11stedcx_sortIffPfEEviPT0_lT1_iiliPiS6_.uses_vcc, or(1, .L__assert_fail.uses_vcc)
	.set _ZN9rocsolver6v33100L11stedcx_sortIffPfEEviPT0_lT1_iiliPiS6_.uses_flat_scratch, or(1, .L__assert_fail.uses_flat_scratch)
	.set _ZN9rocsolver6v33100L11stedcx_sortIffPfEEviPT0_lT1_iiliPiS6_.has_dyn_sized_stack, or(0, .L__assert_fail.has_dyn_sized_stack)
	.set _ZN9rocsolver6v33100L11stedcx_sortIffPfEEviPT0_lT1_iiliPiS6_.has_recursion, or(0, .L__assert_fail.has_recursion)
	.set _ZN9rocsolver6v33100L11stedcx_sortIffPfEEviPT0_lT1_iiliPiS6_.has_indirect_call, or(0, .L__assert_fail.has_indirect_call)
	.section	.AMDGPU.csdata,"",@progbits
; Kernel info:
; codeLenInByte = 2576
; TotalNumSgprs: 60
; NumVgprs: 50
; ScratchSize: 64
; MemoryBound: 0
; FloatMode: 240
; IeeeMode: 1
; LDSByteSize: 0 bytes/workgroup (compile time only)
; SGPRBlocks: 0
; VGPRBlocks: 6
; NumSGPRsForWavesPerEU: 60
; NumVGPRsForWavesPerEU: 50
; Occupancy: 16
; WaveLimiterHint : 1
; COMPUTE_PGM_RSRC2:SCRATCH_EN: 1
; COMPUTE_PGM_RSRC2:USER_SGPR: 8
; COMPUTE_PGM_RSRC2:TRAP_HANDLER: 0
; COMPUTE_PGM_RSRC2:TGID_X_EN: 1
; COMPUTE_PGM_RSRC2:TGID_Y_EN: 0
; COMPUTE_PGM_RSRC2:TGID_Z_EN: 1
; COMPUTE_PGM_RSRC2:TIDIG_COMP_CNT: 2
	.section	.text._ZN9rocsolver6v33100L16reset_batch_infoIdiiPdEEvT2_lT0_T1_,"axG",@progbits,_ZN9rocsolver6v33100L16reset_batch_infoIdiiPdEEvT2_lT0_T1_,comdat
	.globl	_ZN9rocsolver6v33100L16reset_batch_infoIdiiPdEEvT2_lT0_T1_ ; -- Begin function _ZN9rocsolver6v33100L16reset_batch_infoIdiiPdEEvT2_lT0_T1_
	.p2align	8
	.type	_ZN9rocsolver6v33100L16reset_batch_infoIdiiPdEEvT2_lT0_T1_,@function
_ZN9rocsolver6v33100L16reset_batch_infoIdiiPdEEvT2_lT0_T1_: ; @_ZN9rocsolver6v33100L16reset_batch_infoIdiiPdEEvT2_lT0_T1_
; %bb.0:
	s_clause 0x1
	s_load_dword s2, s[4:5], 0x24
	s_load_dwordx2 s[0:1], s[4:5], 0x10
	s_waitcnt lgkmcnt(0)
	s_and_b32 s2, s2, 0xffff
	v_mad_u64_u32 v[0:1], null, s6, s2, v[0:1]
	v_cmp_gt_i32_e32 vcc_lo, s0, v0
	s_and_saveexec_b32 s0, vcc_lo
	s_cbranch_execz .LBB16_2
; %bb.1:
	s_load_dwordx4 s[8:11], s[4:5], 0x0
	v_cvt_f64_i32_e32 v[2:3], s1
	s_ashr_i32 s0, s7, 31
	v_ashrrev_i32_e32 v1, 31, v0
	v_lshlrev_b64 v[0:1], 3, v[0:1]
	s_waitcnt lgkmcnt(0)
	s_mul_hi_u32 s1, s10, s7
	s_mul_i32 s0, s10, s0
	s_mul_i32 s2, s11, s7
	s_add_i32 s1, s1, s0
	s_mul_i32 s0, s10, s7
	s_add_i32 s1, s1, s2
	s_lshl_b64 s[0:1], s[0:1], 3
	s_add_u32 s0, s8, s0
	s_addc_u32 s1, s9, s1
	v_add_co_u32 v0, vcc_lo, s0, v0
	v_add_co_ci_u32_e64 v1, null, s1, v1, vcc_lo
	global_store_dwordx2 v[0:1], v[2:3], off
.LBB16_2:
	s_endpgm
	.section	.rodata,"a",@progbits
	.p2align	6, 0x0
	.amdhsa_kernel _ZN9rocsolver6v33100L16reset_batch_infoIdiiPdEEvT2_lT0_T1_
		.amdhsa_group_segment_fixed_size 0
		.amdhsa_private_segment_fixed_size 0
		.amdhsa_kernarg_size 280
		.amdhsa_user_sgpr_count 6
		.amdhsa_user_sgpr_private_segment_buffer 1
		.amdhsa_user_sgpr_dispatch_ptr 0
		.amdhsa_user_sgpr_queue_ptr 0
		.amdhsa_user_sgpr_kernarg_segment_ptr 1
		.amdhsa_user_sgpr_dispatch_id 0
		.amdhsa_user_sgpr_flat_scratch_init 0
		.amdhsa_user_sgpr_private_segment_size 0
		.amdhsa_wavefront_size32 1
		.amdhsa_uses_dynamic_stack 0
		.amdhsa_system_sgpr_private_segment_wavefront_offset 0
		.amdhsa_system_sgpr_workgroup_id_x 1
		.amdhsa_system_sgpr_workgroup_id_y 1
		.amdhsa_system_sgpr_workgroup_id_z 0
		.amdhsa_system_sgpr_workgroup_info 0
		.amdhsa_system_vgpr_workitem_id 0
		.amdhsa_next_free_vgpr 4
		.amdhsa_next_free_sgpr 12
		.amdhsa_reserve_vcc 1
		.amdhsa_reserve_flat_scratch 0
		.amdhsa_float_round_mode_32 0
		.amdhsa_float_round_mode_16_64 0
		.amdhsa_float_denorm_mode_32 3
		.amdhsa_float_denorm_mode_16_64 3
		.amdhsa_dx10_clamp 1
		.amdhsa_ieee_mode 1
		.amdhsa_fp16_overflow 0
		.amdhsa_workgroup_processor_mode 1
		.amdhsa_memory_ordered 1
		.amdhsa_forward_progress 1
		.amdhsa_shared_vgpr_count 0
		.amdhsa_exception_fp_ieee_invalid_op 0
		.amdhsa_exception_fp_denorm_src 0
		.amdhsa_exception_fp_ieee_div_zero 0
		.amdhsa_exception_fp_ieee_overflow 0
		.amdhsa_exception_fp_ieee_underflow 0
		.amdhsa_exception_fp_ieee_inexact 0
		.amdhsa_exception_int_div_zero 0
	.end_amdhsa_kernel
	.section	.text._ZN9rocsolver6v33100L16reset_batch_infoIdiiPdEEvT2_lT0_T1_,"axG",@progbits,_ZN9rocsolver6v33100L16reset_batch_infoIdiiPdEEvT2_lT0_T1_,comdat
.Lfunc_end16:
	.size	_ZN9rocsolver6v33100L16reset_batch_infoIdiiPdEEvT2_lT0_T1_, .Lfunc_end16-_ZN9rocsolver6v33100L16reset_batch_infoIdiiPdEEvT2_lT0_T1_
                                        ; -- End function
	.set _ZN9rocsolver6v33100L16reset_batch_infoIdiiPdEEvT2_lT0_T1_.num_vgpr, 4
	.set _ZN9rocsolver6v33100L16reset_batch_infoIdiiPdEEvT2_lT0_T1_.num_agpr, 0
	.set _ZN9rocsolver6v33100L16reset_batch_infoIdiiPdEEvT2_lT0_T1_.numbered_sgpr, 12
	.set _ZN9rocsolver6v33100L16reset_batch_infoIdiiPdEEvT2_lT0_T1_.num_named_barrier, 0
	.set _ZN9rocsolver6v33100L16reset_batch_infoIdiiPdEEvT2_lT0_T1_.private_seg_size, 0
	.set _ZN9rocsolver6v33100L16reset_batch_infoIdiiPdEEvT2_lT0_T1_.uses_vcc, 1
	.set _ZN9rocsolver6v33100L16reset_batch_infoIdiiPdEEvT2_lT0_T1_.uses_flat_scratch, 0
	.set _ZN9rocsolver6v33100L16reset_batch_infoIdiiPdEEvT2_lT0_T1_.has_dyn_sized_stack, 0
	.set _ZN9rocsolver6v33100L16reset_batch_infoIdiiPdEEvT2_lT0_T1_.has_recursion, 0
	.set _ZN9rocsolver6v33100L16reset_batch_infoIdiiPdEEvT2_lT0_T1_.has_indirect_call, 0
	.section	.AMDGPU.csdata,"",@progbits
; Kernel info:
; codeLenInByte = 148
; TotalNumSgprs: 14
; NumVgprs: 4
; ScratchSize: 0
; MemoryBound: 0
; FloatMode: 240
; IeeeMode: 1
; LDSByteSize: 0 bytes/workgroup (compile time only)
; SGPRBlocks: 0
; VGPRBlocks: 0
; NumSGPRsForWavesPerEU: 14
; NumVGPRsForWavesPerEU: 4
; Occupancy: 16
; WaveLimiterHint : 0
; COMPUTE_PGM_RSRC2:SCRATCH_EN: 0
; COMPUTE_PGM_RSRC2:USER_SGPR: 6
; COMPUTE_PGM_RSRC2:TRAP_HANDLER: 0
; COMPUTE_PGM_RSRC2:TGID_X_EN: 1
; COMPUTE_PGM_RSRC2:TGID_Y_EN: 1
; COMPUTE_PGM_RSRC2:TGID_Z_EN: 0
; COMPUTE_PGM_RSRC2:TIDIG_COMP_CNT: 0
	.section	.text._ZN9rocsolver6v33100L19stedcx_case1_kernelIdEEv15rocblas_erange_T_S3_PS3_lPiS4_l,"axG",@progbits,_ZN9rocsolver6v33100L19stedcx_case1_kernelIdEEv15rocblas_erange_T_S3_PS3_lPiS4_l,comdat
	.globl	_ZN9rocsolver6v33100L19stedcx_case1_kernelIdEEv15rocblas_erange_T_S3_PS3_lPiS4_l ; -- Begin function _ZN9rocsolver6v33100L19stedcx_case1_kernelIdEEv15rocblas_erange_T_S3_PS3_lPiS4_l
	.p2align	8
	.type	_ZN9rocsolver6v33100L19stedcx_case1_kernelIdEEv15rocblas_erange_T_S3_PS3_lPiS4_l,@function
_ZN9rocsolver6v33100L19stedcx_case1_kernelIdEEv15rocblas_erange_T_S3_PS3_lPiS4_l: ; @_ZN9rocsolver6v33100L19stedcx_case1_kernelIdEEv15rocblas_erange_T_S3_PS3_lPiS4_l
; %bb.0:
	s_clause 0x1
	s_load_dwordx8 s[8:15], s[4:5], 0x8
	s_load_dword s16, s[4:5], 0x0
	s_ashr_i32 s7, s6, 31
	s_waitcnt lgkmcnt(0)
	s_mul_hi_u32 s0, s14, s6
	s_mul_i32 s1, s14, s7
	s_mul_i32 s2, s15, s6
	s_add_i32 s1, s0, s1
	s_mul_i32 s0, s14, s6
	s_add_i32 s1, s1, s2
	s_lshl_b64 s[0:1], s[0:1], 3
	s_add_u32 s14, s12, s0
	s_addc_u32 s15, s13, s1
	s_clause 0x1
	s_load_dwordx4 s[0:3], s[4:5], 0x28
	s_load_dwordx2 s[12:13], s[4:5], 0x38
	s_load_dwordx2 s[4:5], s[14:15], 0x0
	s_cmpk_lg_i32 s16, 0xe8
	s_cselect_b32 s14, -1, 0
	s_and_b32 vcc_lo, exec_lo, s14
	s_cbranch_vccnz .LBB17_2
; %bb.1:
	s_waitcnt lgkmcnt(0)
	v_cmp_nle_f64_e64 s8, s[4:5], s[8:9]
	v_cmp_ngt_f64_e64 s9, s[4:5], s[10:11]
	s_and_b32 s14, s8, s9
	s_mov_b32 s8, -1
	s_andn2_b32 vcc_lo, exec_lo, s14
	s_cbranch_vccz .LBB17_3
	s_branch .LBB17_4
.LBB17_2:
	s_mov_b32 s8, 0
	s_andn2_b32 vcc_lo, exec_lo, s14
	s_cbranch_vccnz .LBB17_4
.LBB17_3:
	s_waitcnt lgkmcnt(0)
	s_mul_i32 s8, s12, s7
	s_mul_hi_u32 s9, s12, s6
	s_mul_i32 s10, s13, s6
	s_add_i32 s9, s9, s8
	s_mul_i32 s8, s12, s6
	s_add_i32 s9, s9, s10
	v_mov_b32_e32 v0, s4
	s_lshl_b64 s[8:9], s[8:9], 3
	v_mov_b32_e32 v2, 0
	s_add_u32 s2, s2, s8
	s_addc_u32 s3, s3, s9
	s_lshl_b64 s[8:9], s[6:7], 2
	v_mov_b32_e32 v3, 1
	v_mov_b32_e32 v1, s5
	s_add_u32 s8, s0, s8
	s_addc_u32 s9, s1, s9
	global_store_dword v2, v3, s[8:9]
	s_mov_b32 s8, 0
	global_store_dwordx2 v2, v[0:1], s[2:3]
.LBB17_4:
	s_andn2_b32 vcc_lo, exec_lo, s8
	s_cbranch_vccnz .LBB17_6
; %bb.5:
	s_waitcnt lgkmcnt(0)
	s_lshl_b64 s[2:3], s[6:7], 2
	v_mov_b32_e32 v0, 0
	s_add_u32 s0, s0, s2
	s_addc_u32 s1, s1, s3
	global_store_dword v0, v0, s[0:1]
.LBB17_6:
	s_endpgm
	.section	.rodata,"a",@progbits
	.p2align	6, 0x0
	.amdhsa_kernel _ZN9rocsolver6v33100L19stedcx_case1_kernelIdEEv15rocblas_erange_T_S3_PS3_lPiS4_l
		.amdhsa_group_segment_fixed_size 0
		.amdhsa_private_segment_fixed_size 0
		.amdhsa_kernarg_size 64
		.amdhsa_user_sgpr_count 6
		.amdhsa_user_sgpr_private_segment_buffer 1
		.amdhsa_user_sgpr_dispatch_ptr 0
		.amdhsa_user_sgpr_queue_ptr 0
		.amdhsa_user_sgpr_kernarg_segment_ptr 1
		.amdhsa_user_sgpr_dispatch_id 0
		.amdhsa_user_sgpr_flat_scratch_init 0
		.amdhsa_user_sgpr_private_segment_size 0
		.amdhsa_wavefront_size32 1
		.amdhsa_uses_dynamic_stack 0
		.amdhsa_system_sgpr_private_segment_wavefront_offset 0
		.amdhsa_system_sgpr_workgroup_id_x 1
		.amdhsa_system_sgpr_workgroup_id_y 0
		.amdhsa_system_sgpr_workgroup_id_z 0
		.amdhsa_system_sgpr_workgroup_info 0
		.amdhsa_system_vgpr_workitem_id 0
		.amdhsa_next_free_vgpr 4
		.amdhsa_next_free_sgpr 17
		.amdhsa_reserve_vcc 1
		.amdhsa_reserve_flat_scratch 0
		.amdhsa_float_round_mode_32 0
		.amdhsa_float_round_mode_16_64 0
		.amdhsa_float_denorm_mode_32 3
		.amdhsa_float_denorm_mode_16_64 3
		.amdhsa_dx10_clamp 1
		.amdhsa_ieee_mode 1
		.amdhsa_fp16_overflow 0
		.amdhsa_workgroup_processor_mode 1
		.amdhsa_memory_ordered 1
		.amdhsa_forward_progress 1
		.amdhsa_shared_vgpr_count 0
		.amdhsa_exception_fp_ieee_invalid_op 0
		.amdhsa_exception_fp_denorm_src 0
		.amdhsa_exception_fp_ieee_div_zero 0
		.amdhsa_exception_fp_ieee_overflow 0
		.amdhsa_exception_fp_ieee_underflow 0
		.amdhsa_exception_fp_ieee_inexact 0
		.amdhsa_exception_int_div_zero 0
	.end_amdhsa_kernel
	.section	.text._ZN9rocsolver6v33100L19stedcx_case1_kernelIdEEv15rocblas_erange_T_S3_PS3_lPiS4_l,"axG",@progbits,_ZN9rocsolver6v33100L19stedcx_case1_kernelIdEEv15rocblas_erange_T_S3_PS3_lPiS4_l,comdat
.Lfunc_end17:
	.size	_ZN9rocsolver6v33100L19stedcx_case1_kernelIdEEv15rocblas_erange_T_S3_PS3_lPiS4_l, .Lfunc_end17-_ZN9rocsolver6v33100L19stedcx_case1_kernelIdEEv15rocblas_erange_T_S3_PS3_lPiS4_l
                                        ; -- End function
	.set _ZN9rocsolver6v33100L19stedcx_case1_kernelIdEEv15rocblas_erange_T_S3_PS3_lPiS4_l.num_vgpr, 4
	.set _ZN9rocsolver6v33100L19stedcx_case1_kernelIdEEv15rocblas_erange_T_S3_PS3_lPiS4_l.num_agpr, 0
	.set _ZN9rocsolver6v33100L19stedcx_case1_kernelIdEEv15rocblas_erange_T_S3_PS3_lPiS4_l.numbered_sgpr, 17
	.set _ZN9rocsolver6v33100L19stedcx_case1_kernelIdEEv15rocblas_erange_T_S3_PS3_lPiS4_l.num_named_barrier, 0
	.set _ZN9rocsolver6v33100L19stedcx_case1_kernelIdEEv15rocblas_erange_T_S3_PS3_lPiS4_l.private_seg_size, 0
	.set _ZN9rocsolver6v33100L19stedcx_case1_kernelIdEEv15rocblas_erange_T_S3_PS3_lPiS4_l.uses_vcc, 1
	.set _ZN9rocsolver6v33100L19stedcx_case1_kernelIdEEv15rocblas_erange_T_S3_PS3_lPiS4_l.uses_flat_scratch, 0
	.set _ZN9rocsolver6v33100L19stedcx_case1_kernelIdEEv15rocblas_erange_T_S3_PS3_lPiS4_l.has_dyn_sized_stack, 0
	.set _ZN9rocsolver6v33100L19stedcx_case1_kernelIdEEv15rocblas_erange_T_S3_PS3_lPiS4_l.has_recursion, 0
	.set _ZN9rocsolver6v33100L19stedcx_case1_kernelIdEEv15rocblas_erange_T_S3_PS3_lPiS4_l.has_indirect_call, 0
	.section	.AMDGPU.csdata,"",@progbits
; Kernel info:
; codeLenInByte = 288
; TotalNumSgprs: 19
; NumVgprs: 4
; ScratchSize: 0
; MemoryBound: 0
; FloatMode: 240
; IeeeMode: 1
; LDSByteSize: 0 bytes/workgroup (compile time only)
; SGPRBlocks: 0
; VGPRBlocks: 0
; NumSGPRsForWavesPerEU: 19
; NumVGPRsForWavesPerEU: 4
; Occupancy: 16
; WaveLimiterHint : 0
; COMPUTE_PGM_RSRC2:SCRATCH_EN: 0
; COMPUTE_PGM_RSRC2:USER_SGPR: 6
; COMPUTE_PGM_RSRC2:TRAP_HANDLER: 0
; COMPUTE_PGM_RSRC2:TGID_X_EN: 1
; COMPUTE_PGM_RSRC2:TGID_Y_EN: 0
; COMPUTE_PGM_RSRC2:TGID_Z_EN: 0
; COMPUTE_PGM_RSRC2:TIDIG_COMP_CNT: 0
	.section	.text._ZN9rocsolver6v33100L10init_identIdPdEEviiT0_iil,"axG",@progbits,_ZN9rocsolver6v33100L10init_identIdPdEEviiT0_iil,comdat
	.globl	_ZN9rocsolver6v33100L10init_identIdPdEEviiT0_iil ; -- Begin function _ZN9rocsolver6v33100L10init_identIdPdEEviiT0_iil
	.p2align	8
	.type	_ZN9rocsolver6v33100L10init_identIdPdEEviiT0_iil,@function
_ZN9rocsolver6v33100L10init_identIdPdEEviiT0_iil: ; @_ZN9rocsolver6v33100L10init_identIdPdEEviiT0_iil
; %bb.0:
	s_clause 0x1
	s_load_dword s2, s[4:5], 0x2c
	s_load_dwordx2 s[0:1], s[4:5], 0x0
	s_waitcnt lgkmcnt(0)
	s_lshr_b32 s3, s2, 16
	s_and_b32 s2, s2, 0xffff
	v_mad_u64_u32 v[4:5], null, s6, s2, v[0:1]
	v_mad_u64_u32 v[1:2], null, s7, s3, v[1:2]
	v_cmp_gt_u32_e32 vcc_lo, s0, v4
	v_cmp_gt_u32_e64 s0, s1, v1
	s_and_b32 s0, vcc_lo, s0
	s_and_saveexec_b32 s1, s0
	s_cbranch_execz .LBB18_6
; %bb.1:
	s_load_dwordx2 s[0:1], s[4:5], 0x10
	s_mov_b32 s2, exec_lo
                                        ; implicit-def: $vgpr0
	v_cmpx_ne_u32_e64 v4, v1
	s_xor_b32 s2, exec_lo, s2
	s_cbranch_execz .LBB18_3
; %bb.2:
	s_waitcnt lgkmcnt(0)
	v_mad_u64_u32 v[0:1], null, v1, s1, v[4:5]
                                        ; implicit-def: $vgpr4_vgpr5
.LBB18_3:
	s_or_saveexec_b32 s2, s2
	v_mov_b32_e32 v2, 0
	v_mov_b32_e32 v3, 0
	s_xor_b32 exec_lo, exec_lo, s2
	s_cbranch_execz .LBB18_5
; %bb.4:
	s_waitcnt lgkmcnt(0)
	v_mad_u64_u32 v[0:1], null, v4, s1, v[4:5]
	v_mov_b32_e32 v2, 0
	v_mov_b32_e32 v3, 0x3ff00000
.LBB18_5:
	s_or_b32 exec_lo, exec_lo, s2
	s_clause 0x1
	s_load_dwordx2 s[2:3], s[4:5], 0x18
	s_load_dwordx2 s[4:5], s[4:5], 0x8
	v_mov_b32_e32 v1, 0
	v_lshlrev_b64 v[0:1], 3, v[0:1]
	s_waitcnt lgkmcnt(0)
	s_mul_i32 s1, s3, s8
	s_mul_hi_u32 s3, s2, s8
	s_mul_i32 s2, s2, s8
	s_add_i32 s3, s3, s1
	s_ashr_i32 s1, s0, 31
	s_lshl_b64 s[2:3], s[2:3], 3
	s_add_u32 s2, s4, s2
	s_addc_u32 s3, s5, s3
	s_lshl_b64 s[0:1], s[0:1], 3
	s_add_u32 s0, s2, s0
	s_addc_u32 s1, s3, s1
	v_add_co_u32 v0, vcc_lo, s0, v0
	v_add_co_ci_u32_e64 v1, null, s1, v1, vcc_lo
	global_store_dwordx2 v[0:1], v[2:3], off
.LBB18_6:
	s_endpgm
	.section	.rodata,"a",@progbits
	.p2align	6, 0x0
	.amdhsa_kernel _ZN9rocsolver6v33100L10init_identIdPdEEviiT0_iil
		.amdhsa_group_segment_fixed_size 0
		.amdhsa_private_segment_fixed_size 0
		.amdhsa_kernarg_size 288
		.amdhsa_user_sgpr_count 6
		.amdhsa_user_sgpr_private_segment_buffer 1
		.amdhsa_user_sgpr_dispatch_ptr 0
		.amdhsa_user_sgpr_queue_ptr 0
		.amdhsa_user_sgpr_kernarg_segment_ptr 1
		.amdhsa_user_sgpr_dispatch_id 0
		.amdhsa_user_sgpr_flat_scratch_init 0
		.amdhsa_user_sgpr_private_segment_size 0
		.amdhsa_wavefront_size32 1
		.amdhsa_uses_dynamic_stack 0
		.amdhsa_system_sgpr_private_segment_wavefront_offset 0
		.amdhsa_system_sgpr_workgroup_id_x 1
		.amdhsa_system_sgpr_workgroup_id_y 1
		.amdhsa_system_sgpr_workgroup_id_z 1
		.amdhsa_system_sgpr_workgroup_info 0
		.amdhsa_system_vgpr_workitem_id 1
		.amdhsa_next_free_vgpr 6
		.amdhsa_next_free_sgpr 9
		.amdhsa_reserve_vcc 1
		.amdhsa_reserve_flat_scratch 0
		.amdhsa_float_round_mode_32 0
		.amdhsa_float_round_mode_16_64 0
		.amdhsa_float_denorm_mode_32 3
		.amdhsa_float_denorm_mode_16_64 3
		.amdhsa_dx10_clamp 1
		.amdhsa_ieee_mode 1
		.amdhsa_fp16_overflow 0
		.amdhsa_workgroup_processor_mode 1
		.amdhsa_memory_ordered 1
		.amdhsa_forward_progress 1
		.amdhsa_shared_vgpr_count 0
		.amdhsa_exception_fp_ieee_invalid_op 0
		.amdhsa_exception_fp_denorm_src 0
		.amdhsa_exception_fp_ieee_div_zero 0
		.amdhsa_exception_fp_ieee_overflow 0
		.amdhsa_exception_fp_ieee_underflow 0
		.amdhsa_exception_fp_ieee_inexact 0
		.amdhsa_exception_int_div_zero 0
	.end_amdhsa_kernel
	.section	.text._ZN9rocsolver6v33100L10init_identIdPdEEviiT0_iil,"axG",@progbits,_ZN9rocsolver6v33100L10init_identIdPdEEviiT0_iil,comdat
.Lfunc_end18:
	.size	_ZN9rocsolver6v33100L10init_identIdPdEEviiT0_iil, .Lfunc_end18-_ZN9rocsolver6v33100L10init_identIdPdEEviiT0_iil
                                        ; -- End function
	.set _ZN9rocsolver6v33100L10init_identIdPdEEviiT0_iil.num_vgpr, 6
	.set _ZN9rocsolver6v33100L10init_identIdPdEEviiT0_iil.num_agpr, 0
	.set _ZN9rocsolver6v33100L10init_identIdPdEEviiT0_iil.numbered_sgpr, 9
	.set _ZN9rocsolver6v33100L10init_identIdPdEEviiT0_iil.num_named_barrier, 0
	.set _ZN9rocsolver6v33100L10init_identIdPdEEviiT0_iil.private_seg_size, 0
	.set _ZN9rocsolver6v33100L10init_identIdPdEEviiT0_iil.uses_vcc, 1
	.set _ZN9rocsolver6v33100L10init_identIdPdEEviiT0_iil.uses_flat_scratch, 0
	.set _ZN9rocsolver6v33100L10init_identIdPdEEviiT0_iil.has_dyn_sized_stack, 0
	.set _ZN9rocsolver6v33100L10init_identIdPdEEviiT0_iil.has_recursion, 0
	.set _ZN9rocsolver6v33100L10init_identIdPdEEviiT0_iil.has_indirect_call, 0
	.section	.AMDGPU.csdata,"",@progbits
; Kernel info:
; codeLenInByte = 272
; TotalNumSgprs: 11
; NumVgprs: 6
; ScratchSize: 0
; MemoryBound: 0
; FloatMode: 240
; IeeeMode: 1
; LDSByteSize: 0 bytes/workgroup (compile time only)
; SGPRBlocks: 0
; VGPRBlocks: 0
; NumSGPRsForWavesPerEU: 11
; NumVGPRsForWavesPerEU: 6
; Occupancy: 16
; WaveLimiterHint : 0
; COMPUTE_PGM_RSRC2:SCRATCH_EN: 0
; COMPUTE_PGM_RSRC2:USER_SGPR: 6
; COMPUTE_PGM_RSRC2:TRAP_HANDLER: 0
; COMPUTE_PGM_RSRC2:TGID_X_EN: 1
; COMPUTE_PGM_RSRC2:TGID_Y_EN: 1
; COMPUTE_PGM_RSRC2:TGID_Z_EN: 1
; COMPUTE_PGM_RSRC2:TIDIG_COMP_CNT: 1
	.section	.text._ZN9rocsolver6v33100L19stedcx_split_kernelIdEEv15rocblas_erange_iT_S3_iiPS3_lS4_lS4_lPiS4_S3_S3_,"axG",@progbits,_ZN9rocsolver6v33100L19stedcx_split_kernelIdEEv15rocblas_erange_iT_S3_iiPS3_lS4_lS4_lPiS4_S3_S3_,comdat
	.globl	_ZN9rocsolver6v33100L19stedcx_split_kernelIdEEv15rocblas_erange_iT_S3_iiPS3_lS4_lS4_lPiS4_S3_S3_ ; -- Begin function _ZN9rocsolver6v33100L19stedcx_split_kernelIdEEv15rocblas_erange_iT_S3_iiPS3_lS4_lS4_lPiS4_S3_S3_
	.p2align	8
	.type	_ZN9rocsolver6v33100L19stedcx_split_kernelIdEEv15rocblas_erange_iT_S3_iiPS3_lS4_lS4_lPiS4_S3_S3_,@function
_ZN9rocsolver6v33100L19stedcx_split_kernelIdEEv15rocblas_erange_iT_S3_iiPS3_lS4_lS4_lPiS4_S3_S3_: ; @_ZN9rocsolver6v33100L19stedcx_split_kernelIdEEv15rocblas_erange_iT_S3_iiPS3_lS4_lS4_lPiS4_S3_S3_
; %bb.0:
	s_clause 0x1
	s_load_dwordx16 s[8:23], s[4:5], 0x20
	s_load_dwordx2 s[28:29], s[4:5], 0x0
	s_ashr_i32 s49, s7, 31
	v_lshlrev_b32_e32 v19, 3, v0
	s_waitcnt lgkmcnt(0)
	s_mul_hi_u32 s0, s10, s7
	s_mul_i32 s1, s10, s49
	s_mul_i32 s2, s11, s7
	s_add_i32 s0, s0, s1
	s_ashr_i32 s11, s29, 31
	s_lshl_b32 s6, s29, 2
	s_add_i32 s41, s0, s2
	v_cmp_gt_i32_e32 vcc_lo, s29, v0
	s_cmpk_eq_i32 s28, 0xe9
	s_mul_i32 s40, s10, s7
	s_cselect_b32 s48, -1, 0
	s_mov_b32 s10, s29
	s_and_b32 s0, s48, vcc_lo
	s_and_saveexec_b32 s1, s0
	s_cbranch_execz .LBB19_3
; %bb.1:
	s_load_dword s0, s[4:5], 0x7c
	s_add_i32 s2, s6, 2
	s_lshl_b64 s[26:27], s[10:11], 3
	s_mul_i32 s2, s7, s2
	v_mov_b32_e32 v5, v0
	s_ashr_i32 s3, s2, 31
	s_lshl_b64 s[2:3], s[2:3], 3
	s_waitcnt lgkmcnt(0)
	s_and_b32 s24, s0, 0xffff
	s_add_u32 s0, s26, s2
	s_addc_u32 s2, s27, s3
	s_add_u32 s0, s22, s0
	s_addc_u32 s26, s23, s2
	v_add_co_u32 v3, s0, s0, v19
	s_lshl_b64 s[2:3], s[40:41], 3
	s_lshl_b32 s25, s24, 3
	v_add_co_ci_u32_e64 v4, null, s26, 0, s0
	s_add_u32 s0, s8, s2
	s_addc_u32 s2, s9, s3
	v_add_co_u32 v1, s0, s0, v19
	v_add_co_u32 v3, vcc_lo, v3, 16
	v_add_co_ci_u32_e64 v2, null, s2, 0, s0
	v_add_co_ci_u32_e64 v4, null, 0, v4, vcc_lo
	s_mov_b32 s26, 0
	s_mov_b64 s[2:3], 0
	.p2align	6
.LBB19_2:                               ; =>This Inner Loop Header: Depth=1
	v_add_co_u32 v6, vcc_lo, v1, s2
	v_add_co_ci_u32_e64 v7, null, s3, v2, vcc_lo
	v_add_nc_u32_e32 v5, s24, v5
	v_add_co_u32 v8, vcc_lo, v3, s2
	global_load_dwordx2 v[6:7], v[6:7], off
	v_add_co_ci_u32_e64 v9, null, s3, v4, vcc_lo
	v_cmp_le_i32_e64 s0, s29, v5
	s_add_u32 s2, s2, s25
	s_addc_u32 s3, s3, 0
	s_or_b32 s26, s0, s26
	s_waitcnt vmcnt(0)
	global_store_dwordx2 v[8:9], v[6:7], off
	s_andn2_b32 exec_lo, exec_lo, s26
	s_cbranch_execnz .LBB19_2
.LBB19_3:
	s_or_b32 exec_lo, exec_lo, s1
	s_add_i32 s33, s29, -1
	v_lshlrev_b32_e32 v2, 2, v0
	s_ashr_i32 s0, s33, 31
	v_mov_b32_e32 v1, 0
	s_lshr_b32 s0, s0, 24
	v_add_nc_u32_e32 v21, -1, v0
	s_add_i32 s0, s33, s0
	s_and_b32 s1, s0, 0xffffff00
	s_ashr_i32 s0, s0, 8
	s_sub_i32 s1, s33, s1
	v_cmp_gt_i32_e32 vcc_lo, s1, v0
	v_add_co_ci_u32_e64 v22, null, s0, 0, vcc_lo
	v_cmp_eq_u32_e64 s0, 0, v0
	v_cmp_ne_u32_e32 vcc_lo, 0, v0
	ds_write_b32 v2, v22 offset:2048
	s_waitcnt lgkmcnt(0)
	s_waitcnt_vscnt null, 0x0
	s_barrier
	buffer_gl0_inv
	s_and_saveexec_b32 s2, vcc_lo
	s_cbranch_execz .LBB19_13
; %bb.4:
	v_mov_b32_e32 v1, 0
	v_mov_b32_e32 v3, 0
	s_mov_b32 s3, exec_lo
	v_cmpx_lt_u32_e32 6, v21
	s_cbranch_execz .LBB19_8
; %bb.5:
	v_and_b32_e32 v3, 0xf8, v0
	v_mov_b32_e32 v1, 0
	s_movk_i32 s25, 0x800
	s_mov_b32 s24, 0
	s_mov_b32 s26, 0
	.p2align	6
.LBB19_6:                               ; =>This Inner Loop Header: Depth=1
	v_mov_b32_e32 v8, s25
	s_add_i32 s26, s26, 8
	s_add_i32 s25, s25, 32
	v_cmp_eq_u32_e64 s1, s26, v3
	ds_read_b128 v[4:7], v8
	ds_read_b128 v[8:11], v8 offset:16
	s_or_b32 s24, s1, s24
	s_waitcnt lgkmcnt(1)
	v_add_nc_u32_e32 v1, v4, v1
	v_add_nc_u32_e32 v1, v5, v1
	;; [unrolled: 1-line block ×4, first 2 shown]
	s_waitcnt lgkmcnt(0)
	v_add_nc_u32_e32 v1, v8, v1
	v_add_nc_u32_e32 v1, v9, v1
	;; [unrolled: 1-line block ×4, first 2 shown]
	s_andn2_b32 exec_lo, exec_lo, s24
	s_cbranch_execnz .LBB19_6
; %bb.7:
	s_or_b32 exec_lo, exec_lo, s24
.LBB19_8:
	s_or_b32 exec_lo, exec_lo, s3
	v_and_b32_e32 v4, 7, v0
	s_mov_b32 s24, 0
	s_mov_b32 s3, exec_lo
	v_cmpx_ne_u32_e32 0, v4
	s_cbranch_execz .LBB19_12
; %bb.9:
	v_lshl_or_b32 v3, v3, 2, 0x800
.LBB19_10:                              ; =>This Inner Loop Header: Depth=1
	ds_read_b32 v5, v3
	v_add_nc_u32_e32 v4, -1, v4
	v_add_nc_u32_e32 v3, 4, v3
	v_cmp_eq_u32_e64 s1, 0, v4
	s_or_b32 s24, s1, s24
	s_waitcnt lgkmcnt(0)
	v_add_nc_u32_e32 v1, v5, v1
	s_andn2_b32 exec_lo, exec_lo, s24
	s_cbranch_execnz .LBB19_10
; %bb.11:
	s_or_b32 exec_lo, exec_lo, s24
.LBB19_12:
	s_or_b32 exec_lo, exec_lo, s3
.LBB19_13:
	s_or_b32 exec_lo, exec_lo, s2
	s_mul_i32 s1, s29, 5
	s_mul_i32 s24, s18, s49
	s_add_i32 s1, s1, 2
	s_mul_hi_u32 s25, s18, s7
	s_mul_i32 s2, s1, s7
	s_mul_i32 s1, s19, s7
	s_add_i32 s19, s25, s24
	s_load_dwordx4 s[24:27], s[4:5], 0x60
	s_ashr_i32 s3, s2, 31
	s_add_i32 s43, s19, s1
	s_lshl_b64 s[30:31], s[2:3], 2
	v_or_b32_e32 v20, 0x800, v2
	s_add_u32 s44, s20, s30
	s_addc_u32 s45, s21, s31
	s_lshl_b64 s[34:35], s[10:11], 2
	v_ashrrev_i32_e32 v2, 31, v1
	s_add_u32 s38, s44, s34
	s_addc_u32 s39, s45, s35
	s_lshl_b32 s36, s29, 1
	v_mov_b32_e32 v5, 0
	s_ashr_i32 s37, s36, 31
	v_lshlrev_b64 v[3:4], 2, v[1:2]
	s_lshl_b64 s[46:47], s[36:37], 2
	s_mul_i32 s42, s18, s7
	s_add_u32 s18, s38, s46
	s_addc_u32 s19, s39, s47
	s_mov_b32 s3, exec_lo
	v_cmpx_lt_i32_e32 0, v22
	s_cbranch_execz .LBB19_19
; %bb.14:
	s_add_i32 s1, s6, 2
	v_lshlrev_b64 v[5:6], 3, v[1:2]
	s_mul_i32 s50, s7, s1
	s_mul_i32 s1, s14, s49
	s_ashr_i32 s51, s50, 31
	s_mul_hi_u32 s2, s14, s7
	s_lshl_b64 s[50:51], s[50:51], 3
	s_mul_i32 s15, s15, s7
	s_add_u32 s49, s22, s50
	s_addc_u32 s50, s23, s51
	s_add_i32 s2, s2, s1
	v_add_co_u32 v2, s1, s18, v3
	v_add_co_ci_u32_e64 v23, null, s19, v4, s1
	v_add_co_u32 v7, s1, s49, v5
	v_add_co_ci_u32_e64 v8, null, s50, v6, s1
	s_add_i32 s15, s2, s15
	s_mul_i32 s14, s14, s7
	v_add_co_u32 v7, s1, v7, 24
	s_lshl_b64 s[14:15], s[14:15], 3
	v_add_co_ci_u32_e64 v8, null, 0, v8, s1
	s_add_u32 s1, s12, s14
	s_addc_u32 s2, s13, s15
	s_lshl_b64 s[12:13], s[40:41], 3
	v_add_co_u32 v9, s1, s1, v5
	v_add_co_ci_u32_e64 v10, null, s2, v6, s1
	s_add_u32 s1, s8, s12
	s_addc_u32 s2, s9, s13
	s_lshl_b64 s[12:13], s[42:43], 3
	v_add_co_u32 v11, s1, s1, v5
	v_add_co_ci_u32_e64 v12, null, s2, v6, s1
	s_add_u32 s1, s16, s12
	s_addc_u32 s2, s17, s13
	v_add_co_u32 v13, s1, s1, v5
	v_add_co_ci_u32_e64 v14, null, s2, v6, s1
	v_mov_b32_e32 v5, 0
	s_mov_b32 s12, 0
	s_branch .LBB19_16
.LBB19_15:                              ;   in Loop: Header=BB19_16 Depth=1
	s_or_b32 exec_lo, exec_lo, s2
	global_store_dwordx2 v[7:8], v[17:18], off
	global_store_dwordx2 v[13:14], v[15:16], off
	v_add_co_u32 v7, s1, v7, 8
	v_add_nc_u32_e32 v22, -1, v22
	v_add_co_ci_u32_e64 v8, null, 0, v8, s1
	v_add_co_u32 v9, s1, v9, 8
	v_add_co_ci_u32_e64 v10, null, 0, v10, s1
	v_add_co_u32 v11, s1, v11, 8
	v_add_co_ci_u32_e64 v12, null, 0, v12, s1
	v_cmp_eq_u32_e64 s1, 0, v22
	v_add_co_u32 v13, s2, v13, 8
	v_add_nc_u32_e32 v1, 1, v1
	v_add_co_ci_u32_e64 v14, null, 0, v14, s2
	s_or_b32 s12, s1, s12
	s_andn2_b32 exec_lo, exec_lo, s12
	s_cbranch_execz .LBB19_18
.LBB19_16:                              ; =>This Inner Loop Header: Depth=1
	global_load_dwordx4 v[24:27], v[11:12], off
	global_load_dwordx2 v[15:16], v[9:10], off
	s_mov_b32 s2, exec_lo
	s_waitcnt vmcnt(1)
	v_mul_f64 v[17:18], v[24:25], v[26:27]
	s_waitcnt lgkmcnt(0)
	v_mul_f64 v[24:25], s[24:25], |v[17:18]|
	s_waitcnt vmcnt(0)
	v_mul_f64 v[17:18], v[15:16], v[15:16]
	v_fma_f64 v[24:25], s[24:25], v[24:25], s[26:27]
	v_cmpx_gt_f64_e32 v[24:25], v[17:18]
	s_cbranch_execz .LBB19_15
; %bb.17:                               ;   in Loop: Header=BB19_16 Depth=1
	v_ashrrev_i32_e32 v6, 31, v5
	v_mov_b32_e32 v17, 0
	v_mov_b32_e32 v18, 0
	v_lshlrev_b64 v[15:16], 2, v[5:6]
	v_add_nc_u32_e32 v5, 1, v5
	v_add_co_u32 v24, s1, v2, v15
	v_add_co_ci_u32_e64 v25, null, v23, v16, s1
	v_mov_b32_e32 v15, 0
	v_mov_b32_e32 v16, 0
	global_store_dword v[24:25], v1, off offset:8
	s_branch .LBB19_15
.LBB19_18:
	s_or_b32 exec_lo, exec_lo, s12
.LBB19_19:
	s_or_b32 exec_lo, exec_lo, s3
	v_mov_b32_e32 v1, 1
	ds_write_b32 v20, v5
	s_waitcnt lgkmcnt(0)
	s_waitcnt_vscnt null, 0x0
	s_barrier
	buffer_gl0_inv
	s_and_saveexec_b32 s1, vcc_lo
	s_cbranch_execz .LBB19_29
; %bb.20:
	v_mov_b32_e32 v2, 0
	v_mov_b32_e32 v1, 1
	s_mov_b32 s2, exec_lo
	v_cmpx_lt_u32_e32 6, v21
	s_cbranch_execz .LBB19_24
; %bb.21:
	v_and_b32_e32 v2, 0xf8, v0
	v_mov_b32_e32 v1, 1
	s_movk_i32 s12, 0x800
	s_mov_b32 s3, 0
	s_mov_b32 s13, 0
	.p2align	6
.LBB19_22:                              ; =>This Inner Loop Header: Depth=1
	v_mov_b32_e32 v10, s12
	s_add_i32 s13, s13, 8
	s_add_i32 s12, s12, 32
	v_cmp_eq_u32_e32 vcc_lo, s13, v2
	ds_read_b128 v[6:9], v10
	ds_read_b128 v[10:13], v10 offset:16
	s_or_b32 s3, vcc_lo, s3
	s_waitcnt lgkmcnt(1)
	v_add_nc_u32_e32 v1, v6, v1
	v_add_nc_u32_e32 v1, v7, v1
	;; [unrolled: 1-line block ×4, first 2 shown]
	s_waitcnt lgkmcnt(0)
	v_add_nc_u32_e32 v1, v10, v1
	v_add_nc_u32_e32 v1, v11, v1
	;; [unrolled: 1-line block ×4, first 2 shown]
	s_andn2_b32 exec_lo, exec_lo, s3
	s_cbranch_execnz .LBB19_22
; %bb.23:
	s_or_b32 exec_lo, exec_lo, s3
.LBB19_24:
	s_or_b32 exec_lo, exec_lo, s2
	v_and_b32_e32 v6, 7, v0
	s_mov_b32 s3, 0
	s_mov_b32 s2, exec_lo
	v_cmpx_ne_u32_e32 0, v6
	s_cbranch_execz .LBB19_28
; %bb.25:
	v_lshl_or_b32 v2, v2, 2, 0x800
.LBB19_26:                              ; =>This Inner Loop Header: Depth=1
	ds_read_b32 v7, v2
	v_add_nc_u32_e32 v6, -1, v6
	v_add_nc_u32_e32 v2, 4, v2
	v_cmp_eq_u32_e32 vcc_lo, 0, v6
	s_or_b32 s3, vcc_lo, s3
	s_waitcnt lgkmcnt(0)
	v_add_nc_u32_e32 v1, v7, v1
	s_andn2_b32 exec_lo, exec_lo, s3
	s_cbranch_execnz .LBB19_26
; %bb.27:
	s_or_b32 exec_lo, exec_lo, s3
.LBB19_28:
	s_or_b32 exec_lo, exec_lo, s2
.LBB19_29:
	s_or_b32 exec_lo, exec_lo, s1
	s_mov_b32 s3, 0
	s_mov_b32 s2, exec_lo
	v_cmpx_lt_i32_e32 0, v5
	s_cbranch_execz .LBB19_32
; %bb.30:
	v_ashrrev_i32_e32 v2, 31, v1
	s_add_u32 s1, s20, s30
	s_addc_u32 s12, s21, s31
	s_add_u32 s13, s20, s46
	s_addc_u32 s14, s21, s47
	s_add_u32 s13, s13, s30
	v_lshlrev_b64 v[6:7], 2, v[1:2]
	s_addc_u32 s14, s14, s31
	s_add_u32 s13, s13, s34
	s_addc_u32 s14, s14, s35
	v_add_co_u32 v8, vcc_lo, s13, v3
	v_add_co_ci_u32_e64 v4, null, s14, v4, vcc_lo
	v_add_co_u32 v2, vcc_lo, s1, v6
	v_add_co_ci_u32_e64 v3, null, s12, v7, vcc_lo
	;; [unrolled: 2-line block ×3, first 2 shown]
	v_mov_b32_e32 v4, v5
	.p2align	6
.LBB19_31:                              ; =>This Inner Loop Header: Depth=1
	global_load_dword v8, v[6:7], off
	v_add_nc_u32_e32 v4, -1, v4
	v_add_co_u32 v6, vcc_lo, v6, 4
	v_add_co_ci_u32_e64 v7, null, 0, v7, vcc_lo
	v_cmp_eq_u32_e32 vcc_lo, 0, v4
	s_or_b32 s3, vcc_lo, s3
	s_waitcnt vmcnt(0)
	v_add_nc_u32_e32 v8, 1, v8
	global_store_dword v[2:3], v8, off
	v_add_co_u32 v2, s1, v2, 4
	v_add_co_ci_u32_e64 v3, null, 0, v3, s1
	s_andn2_b32 exec_lo, exec_lo, s3
	s_cbranch_execnz .LBB19_31
.LBB19_32:
	s_or_b32 exec_lo, exec_lo, s2
	v_cmp_eq_u32_e64 s1, 0xff, v0
	s_and_saveexec_b32 s2, s1
	s_cbranch_execz .LBB19_34
; %bb.33:
	v_add_nc_u32_e32 v1, v1, v5
	v_mov_b32_e32 v4, s29
	v_mov_b32_e32 v5, 0
	v_ashrrev_i32_e32 v2, 31, v1
	v_lshlrev_b64 v[2:3], 2, v[1:2]
	v_add_co_u32 v2, vcc_lo, s44, v2
	v_add_co_ci_u32_e64 v3, null, s45, v3, vcc_lo
	global_store_dword v[2:3], v4, off
	global_store_dword v5, v5, s[44:45]
	global_store_dword v5, v1, s[38:39] offset:4
.LBB19_34:
	s_or_b32 exec_lo, exec_lo, s2
	v_mov_b32_e32 v1, 0
	v_mov_b32_e32 v2, 0
	v_bfrev_b32_e32 v5, -2
	s_mov_b32 s3, exec_lo
	s_waitcnt_vscnt null, 0x0
	s_barrier
	buffer_gl0_inv
	v_cmpx_gt_i32_e64 s33, v0
	s_cbranch_execz .LBB19_38
; %bb.35:
	s_add_i32 s2, s6, 2
	v_mov_b32_e32 v1, 0
	s_mul_i32 s12, s7, s2
	v_mov_b32_e32 v2, 0
	s_ashr_i32 s13, s12, 31
	v_bfrev_b32_e32 v5, -2
	s_lshl_b64 s[12:13], s[12:13], 3
	v_mov_b32_e32 v6, v0
	s_add_u32 s2, s22, s12
	s_addc_u32 s12, s23, s13
	v_add_co_u32 v3, s2, s2, v19
	v_add_co_ci_u32_e64 v4, null, s12, 0, s2
	s_mov_b32 s12, 0
	v_add_co_u32 v3, vcc_lo, v3, 24
	v_add_co_ci_u32_e64 v4, null, 0, v4, vcc_lo
	.p2align	6
.LBB19_36:                              ; =>This Inner Loop Header: Depth=1
	global_load_dwordx2 v[7:8], v[3:4], off
	v_cmp_eq_u32_e32 vcc_lo, 0x7fffffff, v5
	v_add_nc_u32_e32 v9, 1, v6
	v_add_nc_u32_e32 v6, 0x100, v6
	v_add_co_u32 v3, s2, 0x800, v3
	v_add_co_ci_u32_e64 v4, null, 0, v4, s2
	v_cmp_le_i32_e64 s2, s33, v6
	s_waitcnt vmcnt(0)
	v_cmp_lt_f64_e64 s13, v[1:2], |v[7:8]|
	v_and_b32_e32 v8, 0x7fffffff, v8
	s_or_b32 vcc_lo, s13, vcc_lo
	s_or_b32 s12, s2, s12
	v_cndmask_b32_e32 v2, v2, v8, vcc_lo
	v_cndmask_b32_e32 v1, v1, v7, vcc_lo
	;; [unrolled: 1-line block ×3, first 2 shown]
	s_andn2_b32 exec_lo, exec_lo, s12
	s_cbranch_execnz .LBB19_36
; %bb.37:
	s_or_b32 exec_lo, exec_lo, s12
.LBB19_38:
	s_or_b32 exec_lo, exec_lo, s3
	s_cmp_lt_i32 s29, 3
	ds_write_b64 v19, v[1:2]
	ds_write_b32 v20, v5
	s_waitcnt lgkmcnt(0)
	s_barrier
	buffer_gl0_inv
	s_cbranch_scc1 .LBB19_75
; %bb.39:
	s_mov_b32 s3, exec_lo
	v_cmpx_gt_u32_e32 0x80, v0
	s_cbranch_execz .LBB19_45
; %bb.40:
	ds_read_b64 v[3:4], v19 offset:1024
	ds_read_b32 v6, v20 offset:512
	s_mov_b32 s13, exec_lo
	s_waitcnt lgkmcnt(1)
	v_cmp_lt_f64_e64 s12, v[1:2], v[3:4]
	v_cmpx_nlt_f64_e32 v[1:2], v[3:4]
	s_cbranch_execz .LBB19_42
; %bb.41:
	v_cmp_eq_f64_e32 vcc_lo, v[1:2], v[3:4]
	s_waitcnt lgkmcnt(0)
	v_cmp_gt_i32_e64 s2, v5, v6
	s_andn2_b32 s12, s12, exec_lo
	s_and_b32 s2, vcc_lo, s2
	s_and_b32 s2, s2, exec_lo
	s_or_b32 s12, s12, s2
.LBB19_42:
	s_or_b32 exec_lo, exec_lo, s13
	s_and_saveexec_b32 s2, s12
	s_cbranch_execz .LBB19_44
; %bb.43:
	v_mov_b32_e32 v1, v3
	s_waitcnt lgkmcnt(0)
	v_mov_b32_e32 v5, v6
	v_mov_b32_e32 v2, v4
	ds_write_b64 v19, v[3:4]
	ds_write_b32 v20, v6
.LBB19_44:
	s_or_b32 exec_lo, exec_lo, s2
.LBB19_45:
	s_or_b32 exec_lo, exec_lo, s3
	s_mov_b32 s3, exec_lo
	s_waitcnt lgkmcnt(0)
	s_barrier
	buffer_gl0_inv
	v_cmpx_gt_u32_e32 64, v0
	s_cbranch_execz .LBB19_51
; %bb.46:
	ds_read_b64 v[3:4], v19 offset:512
	ds_read_b32 v6, v20 offset:256
	s_mov_b32 s13, exec_lo
	s_waitcnt lgkmcnt(1)
	v_cmp_lt_f64_e64 s12, v[1:2], v[3:4]
	v_cmpx_nlt_f64_e32 v[1:2], v[3:4]
	s_cbranch_execz .LBB19_48
; %bb.47:
	v_cmp_eq_f64_e32 vcc_lo, v[1:2], v[3:4]
	s_waitcnt lgkmcnt(0)
	v_cmp_gt_i32_e64 s2, v5, v6
	s_andn2_b32 s12, s12, exec_lo
	s_and_b32 s2, vcc_lo, s2
	s_and_b32 s2, s2, exec_lo
	s_or_b32 s12, s12, s2
.LBB19_48:
	s_or_b32 exec_lo, exec_lo, s13
	s_and_saveexec_b32 s2, s12
	s_cbranch_execz .LBB19_50
; %bb.49:
	v_mov_b32_e32 v1, v3
	s_waitcnt lgkmcnt(0)
	v_mov_b32_e32 v5, v6
	v_mov_b32_e32 v2, v4
	ds_write_b64 v19, v[3:4]
	ds_write_b32 v20, v6
.LBB19_50:
	s_or_b32 exec_lo, exec_lo, s2
.LBB19_51:
	s_or_b32 exec_lo, exec_lo, s3
	s_mov_b32 s12, exec_lo
	s_waitcnt lgkmcnt(0)
	s_barrier
	buffer_gl0_inv
	v_cmpx_gt_u32_e32 32, v0
	s_cbranch_execz .LBB19_74
; %bb.52:
	ds_read_b64 v[3:4], v19 offset:256
	ds_read_b32 v6, v20 offset:128
	s_mov_b32 s13, exec_lo
	s_waitcnt lgkmcnt(1)
	v_cmp_lt_f64_e64 s3, v[1:2], v[3:4]
	v_cmpx_nlt_f64_e32 v[1:2], v[3:4]
	s_cbranch_execz .LBB19_54
; %bb.53:
	v_cmp_eq_f64_e32 vcc_lo, v[1:2], v[3:4]
	s_waitcnt lgkmcnt(0)
	v_cmp_gt_i32_e64 s2, v5, v6
	s_andn2_b32 s3, s3, exec_lo
	s_and_b32 s2, vcc_lo, s2
	s_and_b32 s2, s2, exec_lo
	s_or_b32 s3, s3, s2
.LBB19_54:
	s_or_b32 exec_lo, exec_lo, s13
	s_and_saveexec_b32 s2, s3
	s_cbranch_execz .LBB19_56
; %bb.55:
	v_mov_b32_e32 v1, v3
	v_mov_b32_e32 v2, v4
	s_waitcnt lgkmcnt(0)
	v_mov_b32_e32 v5, v6
	ds_write_b64 v19, v[3:4]
	ds_write_b32 v20, v6
.LBB19_56:
	s_or_b32 exec_lo, exec_lo, s2
	ds_read_b64 v[3:4], v19 offset:128
	s_waitcnt lgkmcnt(1)
	ds_read_b32 v6, v20 offset:64
	s_mov_b32 s13, exec_lo
	s_waitcnt lgkmcnt(1)
	v_cmp_lt_f64_e64 s3, v[1:2], v[3:4]
	v_cmpx_nlt_f64_e32 v[1:2], v[3:4]
	s_cbranch_execz .LBB19_58
; %bb.57:
	v_cmp_eq_f64_e32 vcc_lo, v[1:2], v[3:4]
	s_waitcnt lgkmcnt(0)
	v_cmp_gt_i32_e64 s2, v5, v6
	s_andn2_b32 s3, s3, exec_lo
	s_and_b32 s2, vcc_lo, s2
	s_and_b32 s2, s2, exec_lo
	s_or_b32 s3, s3, s2
.LBB19_58:
	s_or_b32 exec_lo, exec_lo, s13
	s_and_saveexec_b32 s2, s3
	s_cbranch_execz .LBB19_60
; %bb.59:
	v_mov_b32_e32 v1, v3
	v_mov_b32_e32 v2, v4
	s_waitcnt lgkmcnt(0)
	v_mov_b32_e32 v5, v6
	ds_write_b64 v19, v[3:4]
	ds_write_b32 v20, v6
.LBB19_60:
	s_or_b32 exec_lo, exec_lo, s2
	ds_read_b64 v[3:4], v19 offset:64
	s_waitcnt lgkmcnt(1)
	;; [unrolled: 29-line block ×5, first 2 shown]
	ds_read_b32 v6, v20 offset:4
	s_waitcnt lgkmcnt(1)
	v_cmp_eq_f64_e32 vcc_lo, v[1:2], v[3:4]
	v_cmp_lt_f64_e64 s2, v[1:2], v[3:4]
	s_waitcnt lgkmcnt(0)
	v_cmp_gt_i32_e64 s3, v5, v6
	s_and_b32 s3, vcc_lo, s3
	s_or_b32 s2, s2, s3
	s_and_b32 exec_lo, exec_lo, s2
	s_cbranch_execz .LBB19_74
; %bb.73:
	ds_write_b64 v19, v[3:4]
	ds_write_b32 v20, v6
.LBB19_74:
	s_or_b32 exec_lo, exec_lo, s12
.LBB19_75:
	v_mov_b32_e32 v1, 0
	s_waitcnt lgkmcnt(0)
	s_barrier
	buffer_gl0_inv
	s_load_dwordx4 s[44:47], s[4:5], 0x8
	ds_read_b64 v[1:2], v1
	s_or_b32 s2, s6, 2
	s_mul_i32 s2, s2, s7
	s_ashr_i32 s3, s2, 31
	s_lshl_b64 s[2:3], s[2:3], 3
	s_add_u32 s12, s22, s2
	s_addc_u32 s13, s23, s3
	s_waitcnt lgkmcnt(0)
	v_mov_b32_e32 v3, s46
	v_mul_f64 v[1:2], s[26:27], v[1:2]
	v_mov_b32_e32 v4, s47
	v_cmp_gt_f64_e32 vcc_lo, s[26:27], v[1:2]
	v_readfirstlane_b32 s2, v2
	v_readfirstlane_b32 s3, v1
	v_mov_b32_e32 v1, s44
	v_mov_b32_e32 v2, s45
	s_mov_b32 s44, -1
	s_and_b32 s14, vcc_lo, exec_lo
	s_cselect_b32 s15, s27, s2
	s_cselect_b32 s14, s26, s3
	s_andn2_b32 vcc_lo, exec_lo, s48
	s_cbranch_vccnz .LBB19_123
; %bb.76:
	s_lshl_b64 s[44:45], s[10:11], 3
	s_add_u32 s2, s12, s44
	s_addc_u32 s3, s13, s45
	s_add_u32 s26, s2, s44
	s_addc_u32 s27, s3, s45
	s_lshl_b64 s[2:3], s[42:43], 3
	s_add_u32 s42, s16, s2
	s_addc_u32 s43, s17, s3
	s_lshl_b64 s[16:17], s[40:41], 3
	s_add_u32 s40, s8, s16
	s_addc_u32 s41, s9, s17
	s_and_saveexec_b32 s48, s0
	s_cbranch_execz .LBB19_84
; %bb.77:
	v_mov_b32_e32 v10, 0
	s_cmp_gt_i32 s29, 1
	s_clause 0x1
	global_load_dwordx2 v[6:7], v10, s[40:41]
	global_load_dwordx2 v[3:4], v10, s[42:43]
	s_cselect_b32 s49, -1, 0
	s_cmp_lt_i32 s29, 2
	s_waitcnt vmcnt(0)
	v_add_f64 v[1:2], v[6:7], -|v[3:4]|
	v_and_b32_e32 v4, 0x7fffffff, v4
	v_add_f64 v[8:9], v[6:7], -v[1:2]
	v_cmp_ge_f64_e32 vcc_lo, s[14:15], v[8:9]
	v_cndmask_b32_e64 v5, 0, 1, vcc_lo
	s_cbranch_scc1 .LBB19_80
; %bb.78:
	v_cmp_gt_f64_e64 s46, v[8:9], -s[14:15]
	s_add_i32 s2, s6, 2
	s_xor_b32 s50, s15, 0x80000000
	s_mul_i32 s2, s7, s2
	s_mov_b32 s51, s33
	s_ashr_i32 s3, s2, 31
	s_lshl_b64 s[2:3], s[2:3], 3
	s_and_b32 s46, vcc_lo, s46
	s_add_u32 s2, s22, s2
	s_addc_u32 s3, s23, s3
	s_add_u32 s2, s2, 24
	s_addc_u32 s3, s3, 0
	v_cndmask_b32_e64 v9, v9, s50, s46
	v_cndmask_b32_e64 v8, v8, s14, s46
	s_add_u32 s46, s8, s16
	s_addc_u32 s47, s9, s17
	s_add_u32 s46, s46, 8
	s_addc_u32 s47, s47, 0
	s_inst_prefetch 0x1
	.p2align	6
.LBB19_79:                              ; =>This Inner Loop Header: Depth=1
	s_clause 0x1
	global_load_dwordx2 v[11:12], v10, s[2:3]
	global_load_dwordx2 v[13:14], v10, s[46:47]
	s_add_i32 s51, s51, -1
	s_waitcnt vmcnt(1)
	v_div_scale_f64 v[15:16], null, v[8:9], v[8:9], v[11:12]
	v_div_scale_f64 v[21:22], vcc_lo, v[11:12], v[8:9], v[11:12]
	s_waitcnt vmcnt(0)
	v_add_f64 v[13:14], v[13:14], -v[1:2]
	v_rcp_f64_e32 v[17:18], v[15:16]
	v_fma_f64 v[19:20], -v[15:16], v[17:18], 1.0
	v_fma_f64 v[17:18], v[17:18], v[19:20], v[17:18]
	v_fma_f64 v[19:20], -v[15:16], v[17:18], 1.0
	v_fma_f64 v[17:18], v[17:18], v[19:20], v[17:18]
	v_mul_f64 v[19:20], v[21:22], v[17:18]
	v_fma_f64 v[15:16], -v[15:16], v[19:20], v[21:22]
	v_div_fmas_f64 v[15:16], v[15:16], v[17:18], v[19:20]
	v_div_fixup_f64 v[8:9], v[15:16], v[8:9], v[11:12]
	v_add_f64 v[8:9], v[13:14], -v[8:9]
	v_cmp_ge_f64_e32 vcc_lo, s[14:15], v[8:9]
	v_cmp_gt_f64_e64 s52, v[8:9], -s[14:15]
	v_add_co_ci_u32_e64 v5, null, 0, v5, vcc_lo
	s_and_b32 s52, vcc_lo, s52
	s_add_u32 s2, s2, 8
	v_cndmask_b32_e64 v9, v9, s50, s52
	v_cndmask_b32_e64 v8, v8, s14, s52
	s_addc_u32 s3, s3, 0
	s_add_u32 s46, s46, 8
	s_addc_u32 s47, s47, 0
	s_cmp_lg_u32 s51, 0
	s_cbranch_scc1 .LBB19_79
.LBB19_80:
	s_inst_prefetch 0x2
	v_add_f64 v[3:4], v[6:7], v[3:4]
	s_andn2_b32 vcc_lo, exec_lo, s49
	v_add_f64 v[7:8], v[6:7], -v[3:4]
	v_cmp_ge_f64_e64 s2, s[14:15], v[7:8]
	v_cndmask_b32_e64 v6, 0, 1, s2
	s_cbranch_vccnz .LBB19_83
; %bb.81:
	v_cmp_gt_f64_e64 s3, v[7:8], -s[14:15]
	s_add_i32 s46, s6, 2
	s_xor_b32 s49, s15, 0x80000000
	s_mul_i32 s46, s7, s46
	v_mov_b32_e32 v9, 0
	s_ashr_i32 s47, s46, 31
	s_mov_b32 s50, s33
	s_lshl_b64 s[46:47], s[46:47], 3
	s_and_b32 s2, s2, s3
	s_add_u32 s3, s22, s46
	s_addc_u32 s46, s23, s47
	v_cndmask_b32_e64 v8, v8, s49, s2
	v_cndmask_b32_e64 v7, v7, s14, s2
	s_add_u32 s2, s3, 24
	s_addc_u32 s3, s46, 0
	s_add_u32 s46, s8, s16
	s_addc_u32 s47, s9, s17
	;; [unrolled: 2-line block ×3, first 2 shown]
	s_inst_prefetch 0x1
	.p2align	6
.LBB19_82:                              ; =>This Inner Loop Header: Depth=1
	s_clause 0x1
	global_load_dwordx2 v[10:11], v9, s[2:3]
	global_load_dwordx2 v[12:13], v9, s[46:47]
	s_add_i32 s50, s50, -1
	s_waitcnt vmcnt(1)
	v_div_scale_f64 v[14:15], null, v[7:8], v[7:8], v[10:11]
	v_div_scale_f64 v[20:21], vcc_lo, v[10:11], v[7:8], v[10:11]
	s_waitcnt vmcnt(0)
	v_add_f64 v[12:13], v[12:13], -v[3:4]
	v_rcp_f64_e32 v[16:17], v[14:15]
	v_fma_f64 v[18:19], -v[14:15], v[16:17], 1.0
	v_fma_f64 v[16:17], v[16:17], v[18:19], v[16:17]
	v_fma_f64 v[18:19], -v[14:15], v[16:17], 1.0
	v_fma_f64 v[16:17], v[16:17], v[18:19], v[16:17]
	v_mul_f64 v[18:19], v[20:21], v[16:17]
	v_fma_f64 v[14:15], -v[14:15], v[18:19], v[20:21]
	v_div_fmas_f64 v[14:15], v[14:15], v[16:17], v[18:19]
	v_div_fixup_f64 v[7:8], v[14:15], v[7:8], v[10:11]
	v_add_f64 v[7:8], v[12:13], -v[7:8]
	v_cmp_ge_f64_e32 vcc_lo, s[14:15], v[7:8]
	v_cmp_gt_f64_e64 s51, v[7:8], -s[14:15]
	v_add_co_ci_u32_e64 v6, null, 0, v6, vcc_lo
	s_and_b32 s51, vcc_lo, s51
	s_add_u32 s2, s2, 8
	v_cndmask_b32_e64 v8, v8, s49, s51
	v_cndmask_b32_e64 v7, v7, s14, s51
	s_addc_u32 s3, s3, 0
	s_add_u32 s46, s46, 8
	s_addc_u32 s47, s47, 0
	s_cmp_lg_u32 s50, 0
	s_cbranch_scc1 .LBB19_82
.LBB19_83:
	s_inst_prefetch 0x2
	v_mov_b32_e32 v7, 0
	global_store_dwordx4 v7, v[1:4], s[26:27] offset:16
	global_store_dwordx2 v7, v[5:6], s[38:39] offset:8
.LBB19_84:
	s_or_b32 exec_lo, exec_lo, s48
	v_add_nc_u32_e32 v4, 1, v0
	s_mov_b32 s52, exec_lo
	v_cmpx_gt_i32_e64 s33, v4
	s_cbranch_execz .LBB19_91
; %bb.85:
	s_add_i32 s2, s6, 2
	v_mov_b32_e32 v5, 0
	s_mul_i32 s2, s7, s2
	s_mov_b32 s53, 0
	s_ashr_i32 s3, s2, 31
	s_lshl_b64 s[2:3], s[2:3], 3
	s_add_u32 s2, s22, s2
	s_addc_u32 s3, s23, s3
	s_add_u32 s46, s2, 24
	s_addc_u32 s47, s3, 0
	;; [unrolled: 2-line block ×4, first 2 shown]
	s_xor_b32 s54, s15, 0x80000000
.LBB19_86:                              ; =>This Loop Header: Depth=1
                                        ;     Child Loop BB19_87 Depth 2
                                        ;     Child Loop BB19_89 Depth 2
	v_lshlrev_b64 v[0:1], 3, v[4:5]
	s_mov_b32 s55, 1
	s_mov_b64 s[50:51], s[46:47]
	v_add_co_u32 v2, vcc_lo, s42, v0
	v_add_co_ci_u32_e64 v3, null, s43, v1, vcc_lo
	v_add_co_u32 v0, vcc_lo, s40, v0
	v_add_co_ci_u32_e64 v1, null, s41, v1, vcc_lo
	global_load_dwordx4 v[9:12], v[2:3], off offset:-8
	s_clause 0x1
	global_load_dwordx2 v[2:3], v[0:1], off
	global_load_dwordx2 v[7:8], v5, s[40:41]
	s_waitcnt vmcnt(2)
	v_add_f64 v[9:10], |v[11:12]|, |v[9:10]|
	s_waitcnt vmcnt(1)
	v_add_f64 v[0:1], v[2:3], -v[9:10]
	s_waitcnt vmcnt(0)
	v_add_f64 v[11:12], v[7:8], -v[0:1]
	v_cmp_gt_f64_e64 s2, v[11:12], -s[14:15]
	v_cmp_ge_f64_e32 vcc_lo, s[14:15], v[11:12]
	s_and_b32 s2, vcc_lo, s2
	v_cndmask_b32_e64 v6, 0, 1, vcc_lo
	v_cndmask_b32_e64 v12, v12, s54, s2
	v_cndmask_b32_e64 v11, v11, s14, s2
	s_mov_b64 s[2:3], s[48:49]
	s_inst_prefetch 0x1
	.p2align	6
.LBB19_87:                              ;   Parent Loop BB19_86 Depth=1
                                        ; =>  This Inner Loop Header: Depth=2
	s_clause 0x1
	global_load_dwordx2 v[13:14], v5, s[50:51]
	global_load_dwordx2 v[15:16], v5, s[2:3]
	s_add_i32 s55, s55, 1
	s_waitcnt vmcnt(1)
	v_div_scale_f64 v[17:18], null, v[11:12], v[11:12], v[13:14]
	v_div_scale_f64 v[23:24], vcc_lo, v[13:14], v[11:12], v[13:14]
	s_waitcnt vmcnt(0)
	v_add_f64 v[15:16], v[15:16], -v[0:1]
	v_rcp_f64_e32 v[19:20], v[17:18]
	v_fma_f64 v[21:22], -v[17:18], v[19:20], 1.0
	v_fma_f64 v[19:20], v[19:20], v[21:22], v[19:20]
	v_fma_f64 v[21:22], -v[17:18], v[19:20], 1.0
	v_fma_f64 v[19:20], v[19:20], v[21:22], v[19:20]
	v_mul_f64 v[21:22], v[23:24], v[19:20]
	v_fma_f64 v[17:18], -v[17:18], v[21:22], v[23:24]
	v_div_fmas_f64 v[17:18], v[17:18], v[19:20], v[21:22]
	v_div_fixup_f64 v[11:12], v[17:18], v[11:12], v[13:14]
	v_add_f64 v[11:12], v[15:16], -v[11:12]
	v_cmp_ge_f64_e32 vcc_lo, s[14:15], v[11:12]
	v_cmp_gt_f64_e64 s56, v[11:12], -s[14:15]
	v_add_co_ci_u32_e64 v6, null, 0, v6, vcc_lo
	s_and_b32 s56, vcc_lo, s56
	s_add_u32 s50, s50, 8
	v_cndmask_b32_e64 v12, v12, s54, s56
	v_cndmask_b32_e64 v11, v11, s14, s56
	s_addc_u32 s51, s51, 0
	s_add_u32 s2, s2, 8
	s_addc_u32 s3, s3, 0
	s_cmp_lg_u32 s29, s55
	s_cbranch_scc1 .LBB19_87
; %bb.88:                               ;   in Loop: Header=BB19_86 Depth=1
	s_inst_prefetch 0x2
	v_add_f64 v[2:3], v[2:3], v[9:10]
	s_mov_b64 s[50:51], s[46:47]
	s_mov_b32 s55, s33
	v_add_f64 v[8:9], v[7:8], -v[2:3]
	v_cmp_gt_f64_e64 s2, v[8:9], -s[14:15]
	v_cmp_ge_f64_e32 vcc_lo, s[14:15], v[8:9]
	s_and_b32 s2, vcc_lo, s2
	v_cndmask_b32_e64 v7, 0, 1, vcc_lo
	v_cndmask_b32_e64 v9, v9, s54, s2
	v_cndmask_b32_e64 v8, v8, s14, s2
	s_mov_b64 s[2:3], s[48:49]
	s_inst_prefetch 0x1
	.p2align	6
.LBB19_89:                              ;   Parent Loop BB19_86 Depth=1
                                        ; =>  This Inner Loop Header: Depth=2
	s_clause 0x1
	global_load_dwordx2 v[10:11], v5, s[50:51]
	global_load_dwordx2 v[12:13], v5, s[2:3]
	s_add_i32 s55, s55, -1
	s_waitcnt vmcnt(1)
	v_div_scale_f64 v[14:15], null, v[8:9], v[8:9], v[10:11]
	v_div_scale_f64 v[20:21], vcc_lo, v[10:11], v[8:9], v[10:11]
	s_waitcnt vmcnt(0)
	v_add_f64 v[12:13], v[12:13], -v[2:3]
	v_rcp_f64_e32 v[16:17], v[14:15]
	v_fma_f64 v[18:19], -v[14:15], v[16:17], 1.0
	v_fma_f64 v[16:17], v[16:17], v[18:19], v[16:17]
	v_fma_f64 v[18:19], -v[14:15], v[16:17], 1.0
	v_fma_f64 v[16:17], v[16:17], v[18:19], v[16:17]
	v_mul_f64 v[18:19], v[20:21], v[16:17]
	v_fma_f64 v[14:15], -v[14:15], v[18:19], v[20:21]
	v_div_fmas_f64 v[14:15], v[14:15], v[16:17], v[18:19]
	v_div_fixup_f64 v[8:9], v[14:15], v[8:9], v[10:11]
	v_add_f64 v[8:9], v[12:13], -v[8:9]
	v_cmp_ge_f64_e32 vcc_lo, s[14:15], v[8:9]
	v_cmp_gt_f64_e64 s56, v[8:9], -s[14:15]
	v_add_co_ci_u32_e64 v7, null, 0, v7, vcc_lo
	s_and_b32 s56, vcc_lo, s56
	s_add_u32 s50, s50, 8
	v_cndmask_b32_e64 v9, v9, s54, s56
	v_cndmask_b32_e64 v8, v8, s14, s56
	s_addc_u32 s51, s51, 0
	s_add_u32 s2, s2, 8
	s_addc_u32 s3, s3, 0
	s_cmp_lg_u32 s55, 0
	s_cbranch_scc1 .LBB19_89
; %bb.90:                               ;   in Loop: Header=BB19_86 Depth=1
	s_inst_prefetch 0x2
	v_lshlrev_b32_e32 v8, 1, v4
	v_mov_b32_e32 v9, v5
	v_add_nc_u32_e32 v4, 0x100, v4
	v_lshlrev_b64 v[10:11], 3, v[8:9]
	v_lshlrev_b64 v[8:9], 2, v[8:9]
	v_cmp_le_i32_e32 vcc_lo, s33, v4
	v_add_co_u32 v10, s2, s26, v10
	v_add_co_ci_u32_e64 v11, null, s27, v11, s2
	v_add_co_u32 v8, s2, s38, v8
	v_add_co_ci_u32_e64 v9, null, s39, v9, s2
	s_or_b32 s53, vcc_lo, s53
	global_store_dwordx4 v[10:11], v[0:3], off offset:16
	global_store_dwordx2 v[8:9], v[6:7], off offset:8
	s_andn2_b32 exec_lo, exec_lo, s53
	s_cbranch_execnz .LBB19_86
.LBB19_91:
	s_or_b32 exec_lo, exec_lo, s52
	s_and_saveexec_b32 s46, s1
	s_cbranch_execz .LBB19_99
; %bb.92:
	v_mov_b32_e32 v11, 0
	s_add_u32 s2, s40, s44
	s_addc_u32 s3, s41, s45
	s_add_u32 s42, s42, s44
	s_addc_u32 s43, s43, s45
	s_clause 0x2
	global_load_dwordx2 v[2:3], v11, s[2:3] offset:-8
	global_load_dwordx2 v[5:6], v11, s[42:43] offset:-16
	global_load_dwordx2 v[7:8], v11, s[40:41]
	s_cmp_gt_i32 s29, 1
	s_cselect_b32 s42, -1, 0
	s_cmp_lt_i32 s29, 2
	s_waitcnt vmcnt(1)
	v_add_f64 v[0:1], v[2:3], -|v[5:6]|
	v_and_b32_e32 v6, 0x7fffffff, v6
	s_waitcnt vmcnt(0)
	v_add_f64 v[9:10], v[7:8], -v[0:1]
	v_cmp_ge_f64_e32 vcc_lo, s[14:15], v[9:10]
	v_cndmask_b32_e64 v4, 0, 1, vcc_lo
	s_cbranch_scc1 .LBB19_95
; %bb.93:
	v_cmp_gt_f64_e64 s40, v[9:10], -s[14:15]
	s_add_i32 s1, s6, 2
	s_mov_b32 s43, s33
	s_mul_i32 s2, s7, s1
	s_xor_b32 s1, s15, 0x80000000
	s_ashr_i32 s3, s2, 31
	s_lshl_b64 s[2:3], s[2:3], 3
	s_and_b32 s40, vcc_lo, s40
	s_add_u32 s2, s22, s2
	s_addc_u32 s3, s23, s3
	s_add_u32 s2, s2, 24
	s_addc_u32 s3, s3, 0
	v_cndmask_b32_e64 v10, v10, s1, s40
	v_cndmask_b32_e64 v9, v9, s14, s40
	s_add_u32 s40, s8, s16
	s_addc_u32 s41, s9, s17
	s_add_u32 s40, s40, 8
	s_addc_u32 s41, s41, 0
	s_inst_prefetch 0x1
	.p2align	6
.LBB19_94:                              ; =>This Inner Loop Header: Depth=1
	s_clause 0x1
	global_load_dwordx2 v[12:13], v11, s[2:3]
	global_load_dwordx2 v[14:15], v11, s[40:41]
	s_add_i32 s43, s43, -1
	s_waitcnt vmcnt(1)
	v_div_scale_f64 v[16:17], null, v[9:10], v[9:10], v[12:13]
	v_div_scale_f64 v[22:23], vcc_lo, v[12:13], v[9:10], v[12:13]
	s_waitcnt vmcnt(0)
	v_add_f64 v[14:15], v[14:15], -v[0:1]
	v_rcp_f64_e32 v[18:19], v[16:17]
	v_fma_f64 v[20:21], -v[16:17], v[18:19], 1.0
	v_fma_f64 v[18:19], v[18:19], v[20:21], v[18:19]
	v_fma_f64 v[20:21], -v[16:17], v[18:19], 1.0
	v_fma_f64 v[18:19], v[18:19], v[20:21], v[18:19]
	v_mul_f64 v[20:21], v[22:23], v[18:19]
	v_fma_f64 v[16:17], -v[16:17], v[20:21], v[22:23]
	v_div_fmas_f64 v[16:17], v[16:17], v[18:19], v[20:21]
	v_div_fixup_f64 v[9:10], v[16:17], v[9:10], v[12:13]
	v_add_f64 v[9:10], v[14:15], -v[9:10]
	v_cmp_ge_f64_e32 vcc_lo, s[14:15], v[9:10]
	v_cmp_gt_f64_e64 s44, v[9:10], -s[14:15]
	v_add_co_ci_u32_e64 v4, null, 0, v4, vcc_lo
	s_and_b32 s44, vcc_lo, s44
	s_add_u32 s2, s2, 8
	v_cndmask_b32_e64 v10, v10, s1, s44
	v_cndmask_b32_e64 v9, v9, s14, s44
	s_addc_u32 s3, s3, 0
	s_add_u32 s40, s40, 8
	s_addc_u32 s41, s41, 0
	s_cmp_lg_u32 s43, 0
	s_cbranch_scc1 .LBB19_94
.LBB19_95:
	s_inst_prefetch 0x2
	v_add_f64 v[2:3], v[2:3], v[5:6]
	s_andn2_b32 vcc_lo, exec_lo, s42
	v_add_f64 v[6:7], v[7:8], -v[2:3]
	v_cmp_ge_f64_e64 s1, s[14:15], v[6:7]
	v_cndmask_b32_e64 v5, 0, 1, s1
	s_cbranch_vccnz .LBB19_98
; %bb.96:
	v_cmp_gt_f64_e64 s41, v[6:7], -s[14:15]
	s_add_i32 s2, s6, 2
	s_xor_b32 s40, s15, 0x80000000
	s_mul_i32 s2, s7, s2
	v_mov_b32_e32 v8, 0
	s_ashr_i32 s3, s2, 31
	s_lshl_b64 s[2:3], s[2:3], 3
	s_and_b32 s1, s1, s41
	s_add_u32 s2, s22, s2
	v_cndmask_b32_e64 v7, v7, s40, s1
	v_cndmask_b32_e64 v6, v6, s14, s1
	s_addc_u32 s1, s23, s3
	s_add_u32 s2, s2, 24
	s_addc_u32 s3, s1, 0
	s_add_u32 s1, s8, s16
	;; [unrolled: 2-line block ×3, first 2 shown]
	s_addc_u32 s9, s9, 0
	s_inst_prefetch 0x1
	.p2align	6
.LBB19_97:                              ; =>This Inner Loop Header: Depth=1
	s_clause 0x1
	global_load_dwordx2 v[9:10], v8, s[2:3]
	global_load_dwordx2 v[11:12], v8, s[8:9]
	s_add_i32 s33, s33, -1
	s_waitcnt vmcnt(1)
	v_div_scale_f64 v[13:14], null, v[6:7], v[6:7], v[9:10]
	v_div_scale_f64 v[19:20], vcc_lo, v[9:10], v[6:7], v[9:10]
	s_waitcnt vmcnt(0)
	v_add_f64 v[11:12], v[11:12], -v[2:3]
	v_rcp_f64_e32 v[15:16], v[13:14]
	v_fma_f64 v[17:18], -v[13:14], v[15:16], 1.0
	v_fma_f64 v[15:16], v[15:16], v[17:18], v[15:16]
	v_fma_f64 v[17:18], -v[13:14], v[15:16], 1.0
	v_fma_f64 v[15:16], v[15:16], v[17:18], v[15:16]
	v_mul_f64 v[17:18], v[19:20], v[15:16]
	v_fma_f64 v[13:14], -v[13:14], v[17:18], v[19:20]
	v_div_fmas_f64 v[13:14], v[13:14], v[15:16], v[17:18]
	v_div_fixup_f64 v[6:7], v[13:14], v[6:7], v[9:10]
	v_add_f64 v[6:7], v[11:12], -v[6:7]
	v_cmp_ge_f64_e32 vcc_lo, s[14:15], v[6:7]
	v_cmp_gt_f64_e64 s1, v[6:7], -s[14:15]
	v_add_co_ci_u32_e64 v5, null, 0, v5, vcc_lo
	s_and_b32 s1, vcc_lo, s1
	s_add_u32 s2, s2, 8
	v_cndmask_b32_e64 v7, v7, s40, s1
	v_cndmask_b32_e64 v6, v6, s14, s1
	s_addc_u32 s3, s3, 0
	s_add_u32 s8, s8, 8
	s_addc_u32 s9, s9, 0
	s_cmp_lg_u32 s33, 0
	s_cbranch_scc1 .LBB19_97
.LBB19_98:
	s_inst_prefetch 0x2
	s_lshl_b64 s[2:3], s[36:37], 3
	v_mov_b32_e32 v6, 0
	s_add_u32 s2, s26, s2
	s_addc_u32 s3, s27, s3
	global_store_dwordx4 v6, v[0:3], s[2:3]
	global_store_dwordx2 v6, v[4:5], s[18:19]
.LBB19_99:
	s_or_b32 exec_lo, exec_lo, s46
	s_mov_b32 s44, 0
	s_waitcnt_vscnt null, 0x0
	s_barrier
	buffer_gl0_inv
                                        ; implicit-def: $vgpr3_vgpr4
                                        ; implicit-def: $vgpr1_vgpr2
	s_and_saveexec_b32 s1, s0
	s_cbranch_execz .LBB19_122
; %bb.100:
	s_cmp_gt_i32 s29, 0
	s_mov_b32 s2, 1
	s_cselect_b32 s18, -1, 0
	s_cmp_lt_i32 s29, 1
	s_cbranch_scc1 .LBB19_107
; %bb.101:
	s_add_i32 s6, s6, 2
	s_lshl_b64 s[8:9], s[10:11], 4
	s_mul_i32 s6, s7, s6
	v_mov_b32_e32 v4, 0
	s_ashr_i32 s7, s6, 31
	s_lshl_b64 s[6:7], s[6:7], 3
	s_add_u32 s3, s8, s6
	s_addc_u32 s6, s9, s7
	s_add_u32 s3, s22, s3
	s_addc_u32 s7, s23, s6
	;; [unrolled: 2-line block ×3, first 2 shown]
	s_branch .LBB19_103
.LBB19_102:                             ;   in Loop: Header=BB19_103 Depth=1
	s_add_i32 s2, s2, 1
	s_add_u32 s6, s6, 8
	s_addc_u32 s7, s7, 0
	s_cmp_lg_u32 s2, s36
	s_cbranch_scc0 .LBB19_107
.LBB19_103:                             ; =>This Loop Header: Depth=1
                                        ;     Child Loop BB19_104 Depth 2
	s_ashr_i32 s3, s2, 31
	s_add_i32 s11, s2, -1
	s_lshl_b64 s[8:9], s[2:3], 3
	s_mov_b64 s[16:17], s[6:7]
	s_add_u32 s8, s26, s8
	s_addc_u32 s9, s27, s9
	s_mov_b32 s19, s2
	global_load_dwordx2 v[0:1], v4, s[8:9] offset:8
	s_mov_b32 s10, s11
	s_waitcnt vmcnt(0)
	v_mov_b32_e32 v3, v1
	v_mov_b32_e32 v2, v0
.LBB19_104:                             ;   Parent Loop BB19_103 Depth=1
                                        ; =>  This Inner Loop Header: Depth=2
	global_load_dwordx2 v[5:6], v4, s[16:17]
	s_waitcnt vmcnt(0)
	v_cmp_lt_f64_e32 vcc_lo, v[5:6], v[2:3]
	s_and_b32 s22, vcc_lo, exec_lo
	v_cndmask_b32_e32 v3, v3, v6, vcc_lo
	v_cndmask_b32_e32 v2, v2, v5, vcc_lo
	s_cselect_b32 s10, s19, s10
	s_add_i32 s19, s19, 1
	s_add_u32 s16, s16, 8
	s_addc_u32 s17, s17, 0
	s_cmp_eq_u32 s36, s19
	s_cbranch_scc0 .LBB19_104
; %bb.105:                              ;   in Loop: Header=BB19_103 Depth=1
	s_cmp_lg_u32 s10, s11
	s_cbranch_scc0 .LBB19_102
; %bb.106:                              ;   in Loop: Header=BB19_103 Depth=1
	s_ashr_i32 s11, s10, 31
	s_lshl_b64 s[16:17], s[10:11], 3
	s_add_u32 s16, s26, s16
	s_addc_u32 s17, s27, s17
	s_lshl_b64 s[10:11], s[10:11], 2
	s_add_u32 s10, s38, s10
	s_addc_u32 s11, s39, s11
	s_lshl_b64 s[22:23], s[2:3], 2
	s_add_u32 s22, s38, s22
	s_addc_u32 s23, s39, s23
	s_clause 0x1
	global_load_dword v5, v4, s[22:23] offset:4
	global_load_dword v6, v4, s[10:11] offset:8
	global_store_dwordx2 v4, v[0:1], s[16:17] offset:16
	global_store_dwordx2 v4, v[2:3], s[8:9] offset:8
	s_waitcnt vmcnt(1)
	global_store_dword v4, v5, s[10:11] offset:8
	s_waitcnt vmcnt(0)
	global_store_dword v4, v6, s[22:23] offset:4
	s_branch .LBB19_102
.LBB19_107:
	v_mov_b32_e32 v1, 0
	s_lshl_b64 s[2:3], s[36:37], 3
	v_cvt_f64_i32_e32 v[8:9], s29
	s_add_u32 s6, s26, s2
	s_addc_u32 s7, s27, s3
	s_clause 0x1
	global_load_dwordx2 v[2:3], v1, s[26:27] offset:16
	global_load_dwordx2 v[4:5], v1, s[6:7] offset:8
	s_load_dwordx2 s[2:3], s[4:5], 0x18
	v_cndmask_b32_e64 v0, 0, 1, s18
	s_waitcnt vmcnt(0)
	v_cmp_lt_f64_e64 vcc_lo, |v[2:3]|, |v[4:5]|
	v_cndmask_b32_e32 v7, v3, v5, vcc_lo
	v_cndmask_b32_e32 v6, v2, v4, vcc_lo
	s_andn2_b32 vcc_lo, exec_lo, s18
	v_mul_f64 v[6:7], s[24:25], |v[6:7]|
	v_fma_f64 v[2:3], -v[6:7], v[8:9], v[2:3]
	v_fma_f64 v[4:5], v[6:7], v[8:9], v[4:5]
	v_add_f64 v[2:3], v[2:3], -s[14:15]
	v_add_f64 v[4:5], s[14:15], v[4:5]
	global_store_dwordx2 v1, v[2:3], s[26:27] offset:16
	global_store_dwordx2 v1, v[4:5], s[6:7] offset:8
	s_cbranch_vccnz .LBB19_113
; %bb.108:
	s_max_i32 s7, s36, 2
	s_mov_b32 s8, 0
	s_add_i32 s7, s7, -1
	s_add_u32 s4, s34, s30
	s_addc_u32 s5, s35, s31
	s_add_u32 s4, s20, s4
	s_addc_u32 s5, s21, s5
	;; [unrolled: 2-line block ×3, first 2 shown]
	s_branch .LBB19_110
	.p2align	6
.LBB19_109:                             ;   in Loop: Header=BB19_110 Depth=1
	s_add_i32 s8, s8, 1
	s_add_u32 s4, s4, 4
	s_addc_u32 s5, s5, 0
	s_cmp_eq_u32 s7, s8
	s_mov_b32 s6, s7
	s_cselect_b32 s9, -1, 0
	s_andn2_b32 vcc_lo, exec_lo, s9
	s_cbranch_vccz .LBB19_112
.LBB19_110:                             ; =>This Inner Loop Header: Depth=1
	global_load_dword v2, v1, s[4:5]
	s_waitcnt vmcnt(0) lgkmcnt(0)
	v_cmp_le_i32_e32 vcc_lo, s2, v2
	s_cbranch_vccz .LBB19_109
; %bb.111:
	s_mov_b32 s6, s8
                                        ; implicit-def: $sgpr4_sgpr5
.LBB19_112:
	s_mov_b32 s7, 0
	s_branch .LBB19_114
.LBB19_113:
	s_mov_b64 s[6:7], 0
.LBB19_114:
	s_lshl_b64 s[4:5], s[6:7], 3
	v_mov_b32_e32 v3, 0
	s_add_u32 s4, s26, s4
	s_addc_u32 s5, s27, s5
	v_cmp_ne_u32_e32 vcc_lo, 1, v0
	s_mov_b32 s6, 1
	global_load_dwordx2 v[1:2], v3, s[4:5] offset:16
	s_cbranch_vccnz .LBB19_120
; %bb.115:
	s_max_i32 s7, s36, 2
	s_add_i32 s8, s7, -1
	s_waitcnt lgkmcnt(0)
	s_add_u32 s2, s34, s30
	s_addc_u32 s4, s35, s31
	s_add_u32 s2, s20, s2
	s_addc_u32 s5, s21, s4
	s_add_u32 s4, s2, 12
	s_addc_u32 s5, s5, 0
	s_branch .LBB19_117
	.p2align	6
.LBB19_116:
	s_mov_b32 s2, s6
                                        ; implicit-def: $sgpr4_sgpr5
	s_branch .LBB19_119
.LBB19_117:                             ; =>This Inner Loop Header: Depth=1
	global_load_dword v0, v3, s[4:5]
	s_waitcnt vmcnt(0)
	v_cmp_gt_i32_e32 vcc_lo, s3, v0
	s_cbranch_vccz .LBB19_116
; %bb.118:                              ;   in Loop: Header=BB19_117 Depth=1
	s_add_i32 s6, s6, 1
	s_add_u32 s4, s4, 4
	s_addc_u32 s5, s5, 0
	s_cmp_eq_u32 s7, s6
	s_mov_b32 s2, s8
	s_cselect_b32 s9, -1, 0
	s_andn2_b32 vcc_lo, exec_lo, s9
	s_cbranch_vccnz .LBB19_117
.LBB19_119:
	s_ashr_i32 s3, s2, 31
	s_branch .LBB19_121
.LBB19_120:
	s_waitcnt lgkmcnt(0)
	s_mov_b64 s[2:3], 0
.LBB19_121:
	s_lshl_b64 s[2:3], s[2:3], 3
	v_mov_b32_e32 v0, 0
	s_add_u32 s2, s26, s2
	s_addc_u32 s3, s27, s3
	s_mov_b32 s44, exec_lo
	global_load_dwordx2 v[3:4], v0, s[2:3] offset:16
.LBB19_122:
	s_or_b32 exec_lo, exec_lo, s1
.LBB19_123:
	s_and_saveexec_b32 s1, s44
	s_cbranch_execz .LBB19_126
; %bb.124:
	s_and_b32 exec_lo, exec_lo, s0
	s_cbranch_execz .LBB19_126
; %bb.125:
	s_cmpk_eq_i32 s28, 0xe7
	v_mov_b32_e32 v5, s14
	s_cselect_b32 s0, -1, 0
	v_mov_b32_e32 v0, 0
	v_mov_b32_e32 v6, s15
	s_waitcnt vmcnt(0)
	v_cndmask_b32_e64 v4, v4, 0, s0
	v_cndmask_b32_e64 v3, v3, 0, s0
	;; [unrolled: 1-line block ×4, first 2 shown]
	global_store_dwordx2 v0, v[5:6], s[12:13] offset:16
	global_store_dwordx4 v0, v[1:4], s[12:13]
.LBB19_126:
	s_endpgm
	.section	.rodata,"a",@progbits
	.p2align	6, 0x0
	.amdhsa_kernel _ZN9rocsolver6v33100L19stedcx_split_kernelIdEEv15rocblas_erange_iT_S3_iiPS3_lS4_lS4_lPiS4_S3_S3_
		.amdhsa_group_segment_fixed_size 3072
		.amdhsa_private_segment_fixed_size 0
		.amdhsa_kernarg_size 368
		.amdhsa_user_sgpr_count 6
		.amdhsa_user_sgpr_private_segment_buffer 1
		.amdhsa_user_sgpr_dispatch_ptr 0
		.amdhsa_user_sgpr_queue_ptr 0
		.amdhsa_user_sgpr_kernarg_segment_ptr 1
		.amdhsa_user_sgpr_dispatch_id 0
		.amdhsa_user_sgpr_flat_scratch_init 0
		.amdhsa_user_sgpr_private_segment_size 0
		.amdhsa_wavefront_size32 1
		.amdhsa_uses_dynamic_stack 0
		.amdhsa_system_sgpr_private_segment_wavefront_offset 0
		.amdhsa_system_sgpr_workgroup_id_x 1
		.amdhsa_system_sgpr_workgroup_id_y 1
		.amdhsa_system_sgpr_workgroup_id_z 0
		.amdhsa_system_sgpr_workgroup_info 0
		.amdhsa_system_vgpr_workitem_id 0
		.amdhsa_next_free_vgpr 28
		.amdhsa_next_free_sgpr 57
		.amdhsa_reserve_vcc 1
		.amdhsa_reserve_flat_scratch 0
		.amdhsa_float_round_mode_32 0
		.amdhsa_float_round_mode_16_64 0
		.amdhsa_float_denorm_mode_32 3
		.amdhsa_float_denorm_mode_16_64 3
		.amdhsa_dx10_clamp 1
		.amdhsa_ieee_mode 1
		.amdhsa_fp16_overflow 0
		.amdhsa_workgroup_processor_mode 1
		.amdhsa_memory_ordered 1
		.amdhsa_forward_progress 1
		.amdhsa_shared_vgpr_count 0
		.amdhsa_exception_fp_ieee_invalid_op 0
		.amdhsa_exception_fp_denorm_src 0
		.amdhsa_exception_fp_ieee_div_zero 0
		.amdhsa_exception_fp_ieee_overflow 0
		.amdhsa_exception_fp_ieee_underflow 0
		.amdhsa_exception_fp_ieee_inexact 0
		.amdhsa_exception_int_div_zero 0
	.end_amdhsa_kernel
	.section	.text._ZN9rocsolver6v33100L19stedcx_split_kernelIdEEv15rocblas_erange_iT_S3_iiPS3_lS4_lS4_lPiS4_S3_S3_,"axG",@progbits,_ZN9rocsolver6v33100L19stedcx_split_kernelIdEEv15rocblas_erange_iT_S3_iiPS3_lS4_lS4_lPiS4_S3_S3_,comdat
.Lfunc_end19:
	.size	_ZN9rocsolver6v33100L19stedcx_split_kernelIdEEv15rocblas_erange_iT_S3_iiPS3_lS4_lS4_lPiS4_S3_S3_, .Lfunc_end19-_ZN9rocsolver6v33100L19stedcx_split_kernelIdEEv15rocblas_erange_iT_S3_iiPS3_lS4_lS4_lPiS4_S3_S3_
                                        ; -- End function
	.set _ZN9rocsolver6v33100L19stedcx_split_kernelIdEEv15rocblas_erange_iT_S3_iiPS3_lS4_lS4_lPiS4_S3_S3_.num_vgpr, 28
	.set _ZN9rocsolver6v33100L19stedcx_split_kernelIdEEv15rocblas_erange_iT_S3_iiPS3_lS4_lS4_lPiS4_S3_S3_.num_agpr, 0
	.set _ZN9rocsolver6v33100L19stedcx_split_kernelIdEEv15rocblas_erange_iT_S3_iiPS3_lS4_lS4_lPiS4_S3_S3_.numbered_sgpr, 57
	.set _ZN9rocsolver6v33100L19stedcx_split_kernelIdEEv15rocblas_erange_iT_S3_iiPS3_lS4_lS4_lPiS4_S3_S3_.num_named_barrier, 0
	.set _ZN9rocsolver6v33100L19stedcx_split_kernelIdEEv15rocblas_erange_iT_S3_iiPS3_lS4_lS4_lPiS4_S3_S3_.private_seg_size, 0
	.set _ZN9rocsolver6v33100L19stedcx_split_kernelIdEEv15rocblas_erange_iT_S3_iiPS3_lS4_lS4_lPiS4_S3_S3_.uses_vcc, 1
	.set _ZN9rocsolver6v33100L19stedcx_split_kernelIdEEv15rocblas_erange_iT_S3_iiPS3_lS4_lS4_lPiS4_S3_S3_.uses_flat_scratch, 0
	.set _ZN9rocsolver6v33100L19stedcx_split_kernelIdEEv15rocblas_erange_iT_S3_iiPS3_lS4_lS4_lPiS4_S3_S3_.has_dyn_sized_stack, 0
	.set _ZN9rocsolver6v33100L19stedcx_split_kernelIdEEv15rocblas_erange_iT_S3_iiPS3_lS4_lS4_lPiS4_S3_S3_.has_recursion, 0
	.set _ZN9rocsolver6v33100L19stedcx_split_kernelIdEEv15rocblas_erange_iT_S3_iiPS3_lS4_lS4_lPiS4_S3_S3_.has_indirect_call, 0
	.section	.AMDGPU.csdata,"",@progbits
; Kernel info:
; codeLenInByte = 6856
; TotalNumSgprs: 59
; NumVgprs: 28
; ScratchSize: 0
; MemoryBound: 0
; FloatMode: 240
; IeeeMode: 1
; LDSByteSize: 3072 bytes/workgroup (compile time only)
; SGPRBlocks: 0
; VGPRBlocks: 3
; NumSGPRsForWavesPerEU: 59
; NumVGPRsForWavesPerEU: 28
; Occupancy: 16
; WaveLimiterHint : 0
; COMPUTE_PGM_RSRC2:SCRATCH_EN: 0
; COMPUTE_PGM_RSRC2:USER_SGPR: 6
; COMPUTE_PGM_RSRC2:TRAP_HANDLER: 0
; COMPUTE_PGM_RSRC2:TGID_X_EN: 1
; COMPUTE_PGM_RSRC2:TGID_Y_EN: 1
; COMPUTE_PGM_RSRC2:TGID_Z_EN: 0
; COMPUTE_PGM_RSRC2:TIDIG_COMP_CNT: 0
	.section	.text._ZN9rocsolver6v33100L20stedcx_divide_kernelIdEEviPT_lS3_lPi,"axG",@progbits,_ZN9rocsolver6v33100L20stedcx_divide_kernelIdEEviPT_lS3_lPi,comdat
	.globl	_ZN9rocsolver6v33100L20stedcx_divide_kernelIdEEviPT_lS3_lPi ; -- Begin function _ZN9rocsolver6v33100L20stedcx_divide_kernelIdEEviPT_lS3_lPi
	.p2align	8
	.type	_ZN9rocsolver6v33100L20stedcx_divide_kernelIdEEviPT_lS3_lPi,@function
_ZN9rocsolver6v33100L20stedcx_divide_kernelIdEEviPT_lS3_lPi: ; @_ZN9rocsolver6v33100L20stedcx_divide_kernelIdEEviPT_lS3_lPi
; %bb.0:
	s_clause 0x1
	s_load_dword s16, s[4:5], 0x0
	s_load_dwordx2 s[0:1], s[4:5], 0x28
	s_mov_b32 s8, exec_lo
	s_waitcnt lgkmcnt(0)
	s_mul_i32 s2, s16, 5
	s_ashr_i32 s17, s16, 31
	s_add_i32 s2, s2, 2
	s_mul_i32 s2, s2, s6
	s_ashr_i32 s3, s2, 31
	s_lshl_b64 s[18:19], s[2:3], 2
	s_add_u32 s7, s0, s18
	s_addc_u32 s22, s1, s19
	s_lshl_b64 s[20:21], s[16:17], 2
	s_add_u32 s2, s7, s20
	s_addc_u32 s3, s22, s21
	s_load_dword s23, s[2:3], 0x4
	s_waitcnt lgkmcnt(0)
	v_cmpx_gt_i32_e64 s23, v0
	s_cbranch_execz .LBB20_21
; %bb.1:
	s_load_dwordx8 s[8:15], s[4:5], 0x8
	s_ashr_i32 s24, s6, 31
	v_mov_b32_e32 v1, 0
	s_waitcnt lgkmcnt(0)
	s_mul_hi_u32 s5, s10, s6
	s_mul_i32 s25, s10, s24
	s_mul_i32 s11, s11, s6
	s_add_i32 s5, s5, s25
	s_mul_i32 s4, s10, s6
	s_add_i32 s5, s5, s11
	s_mul_hi_u32 s10, s14, s6
	s_lshl_b64 s[4:5], s[4:5], 3
	s_mul_i32 s11, s14, s24
	s_add_u32 s8, s8, s4
	s_mul_i32 s15, s15, s6
	s_addc_u32 s9, s9, s5
	s_add_i32 s5, s10, s11
	s_mul_i32 s4, s14, s6
	s_add_i32 s5, s5, s15
	s_lshl_b64 s[10:11], s[4:5], 3
	s_mov_b32 s5, 0
	s_add_u32 s6, s12, s10
	s_addc_u32 s10, s13, s11
	s_add_u32 s11, s2, s20
	s_addc_u32 s12, s3, s21
	;; [unrolled: 2-line block ×5, first 2 shown]
	s_lshl_b64 s[16:17], s[16:17], 3
	s_add_u32 s15, s16, s18
	s_addc_u32 s16, s17, s19
	s_add_u32 s0, s0, s15
	s_addc_u32 s15, s1, s16
	;; [unrolled: 2-line block ×4, first 2 shown]
	s_mov_b32 s18, 0
	s_branch .LBB20_3
.LBB20_2:                               ;   in Loop: Header=BB20_3 Depth=1
	s_or_b32 exec_lo, exec_lo, s0
	v_add_nc_u32_e32 v0, 0x200, v0
	v_cmp_le_i32_e32 vcc_lo, s23, v0
	s_or_b32 s18, vcc_lo, s18
	s_andn2_b32 exec_lo, exec_lo, s18
	s_cbranch_execz .LBB20_21
.LBB20_3:                               ; =>This Loop Header: Depth=1
                                        ;     Child Loop BB20_13 Depth 2
                                        ;       Child Loop BB20_14 Depth 3
                                        ;     Child Loop BB20_17 Depth 2
	v_lshlrev_b64 v[2:3], 2, v[0:1]
	v_mov_b32_e32 v12, 0
	s_mov_b32 s0, exec_lo
	v_add_co_u32 v2, vcc_lo, s7, v2
	v_add_co_ci_u32_e64 v3, null, s22, v3, vcc_lo
	global_load_dwordx2 v[2:3], v[2:3], off
	s_waitcnt vmcnt(0)
	v_sub_nc_u32_e32 v10, v3, v2
	v_cmpx_lt_i32_e32 2, v10
	s_cbranch_execz .LBB20_11
; %bb.4:                                ;   in Loop: Header=BB20_3 Depth=1
	v_mov_b32_e32 v12, 1
	s_mov_b32 s4, exec_lo
	v_cmpx_lt_u32_e32 4, v10
	s_cbranch_execz .LBB20_10
; %bb.5:                                ;   in Loop: Header=BB20_3 Depth=1
	v_mov_b32_e32 v12, 2
	s_mov_b32 s19, exec_lo
	v_cmpx_lt_u32_e32 32, v10
	;; [unrolled: 5-line block ×3, first 2 shown]
; %bb.7:                                ;   in Loop: Header=BB20_3 Depth=1
	v_cmp_gt_u32_e32 vcc_lo, 0x128, v10
	v_cndmask_b32_e64 v3, 7, 5, vcc_lo
	v_cmp_gt_u32_e32 vcc_lo, 0x79b, v10
	v_cndmask_b32_e32 v12, 8, v3, vcc_lo
; %bb.8:                                ;   in Loop: Header=BB20_3 Depth=1
	s_or_b32 exec_lo, exec_lo, s20
.LBB20_9:                               ;   in Loop: Header=BB20_3 Depth=1
	s_or_b32 exec_lo, exec_lo, s19
.LBB20_10:                              ;   in Loop: Header=BB20_3 Depth=1
	s_or_b32 exec_lo, exec_lo, s4
.LBB20_11:                              ;   in Loop: Header=BB20_3 Depth=1
	s_or_b32 exec_lo, exec_lo, s0
	v_ashrrev_i32_e32 v3, 31, v2
	s_mov_b32 s0, exec_lo
	v_lshlrev_b64 v[6:7], 2, v[2:3]
	v_add_co_u32 v8, vcc_lo, s2, v6
	v_add_co_ci_u32_e64 v9, null, s3, v7, vcc_lo
	v_add_co_u32 v4, vcc_lo, s11, v6
	v_add_co_ci_u32_e64 v5, null, s12, v7, vcc_lo
	global_store_dword v[8:9], v10, off offset:8
	v_cmpx_ne_u32_e32 0, v12
	s_xor_b32 s19, exec_lo, s0
	s_cbranch_execz .LBB20_19
; %bb.12:                               ;   in Loop: Header=BB20_3 Depth=1
	v_add_co_u32 v3, vcc_lo, s13, v6
	v_add_co_ci_u32_e64 v13, null, s14, v7, vcc_lo
	s_mov_b32 s20, 0
	s_mov_b32 s21, 0
	s_inst_prefetch 0x1
	.p2align	6
.LBB20_13:                              ;   Parent Loop BB20_3 Depth=1
                                        ; =>  This Loop Header: Depth=2
                                        ;       Child Loop BB20_14 Depth 3
	s_lshl_b32 s4, 1, s21
	s_lshl_b64 s[24:25], s[4:5], 2
	v_add_co_u32 v10, vcc_lo, v3, s24
	v_add_co_ci_u32_e64 v11, null, s25, v13, vcc_lo
	s_add_i32 s24, s4, 1
	s_lshl_b32 s4, s4, 1
	.p2align	6
.LBB20_14:                              ;   Parent Loop BB20_3 Depth=1
                                        ;     Parent Loop BB20_13 Depth=2
                                        ; =>    This Inner Loop Header: Depth=3
	global_load_dword v17, v[10:11], off
	s_lshl_b64 s[26:27], s[4:5], 2
	v_add_co_u32 v10, vcc_lo, v10, -4
	v_add_co_ci_u32_e64 v11, null, -1, v11, vcc_lo
	s_add_i32 s24, s24, -1
	s_add_i32 s4, s4, -2
	s_cmp_lt_u32 s24, 2
	s_waitcnt vmcnt(0)
	v_lshrrev_b32_e32 v14, 31, v17
	v_add_nc_u32_e32 v15, v17, v14
	v_add_co_u32 v14, s0, v8, s26
	v_and_b32_e32 v18, -2, v15
	v_ashrrev_i32_e32 v16, 1, v15
	v_add_co_ci_u32_e64 v15, null, s27, v9, s0
	v_cmp_lt_i32_e64 s0, v18, v17
	v_add_co_ci_u32_e64 v17, null, 0, v16, s0
	global_store_dwordx2 v[14:15], v[16:17], off
	s_cbranch_scc0 .LBB20_14
; %bb.15:                               ;   in Loop: Header=BB20_13 Depth=2
	s_add_i32 s21, s21, 1
	v_cmp_eq_u32_e32 vcc_lo, s21, v12
	s_or_b32 s20, vcc_lo, s20
	s_andn2_b32 exec_lo, exec_lo, s20
	s_cbranch_execnz .LBB20_13
; %bb.16:                               ;   in Loop: Header=BB20_3 Depth=1
	s_inst_prefetch 0x2
	s_or_b32 exec_lo, exec_lo, s20
	v_add_co_u32 v8, vcc_lo, s1, v6
	v_add_co_ci_u32_e64 v9, null, s15, v7, vcc_lo
	v_add_co_u32 v6, vcc_lo, s16, v6
	v_add_co_ci_u32_e64 v7, null, s17, v7, vcc_lo
	s_mov_b32 s20, 2
	s_mov_b32 s4, 0
	global_store_dword v[4:5], v2, off offset:8
	s_inst_prefetch 0x1
	.p2align	6
.LBB20_17:                              ;   Parent Loop BB20_3 Depth=1
                                        ; =>  This Inner Loop Header: Depth=2
	global_load_dword v3, v[6:7], off
	v_lshrrev_b32_e64 v5, v12, s20
	s_add_i32 s20, s20, 1
	s_waitcnt vmcnt(0)
	v_add_nc_u32_e32 v2, v3, v2
	v_ashrrev_i32_e32 v3, 31, v2
	v_lshlrev_b64 v[3:4], 3, v[2:3]
	v_add_co_u32 v10, vcc_lo, s6, v3
	v_add_co_ci_u32_e64 v11, null, s10, v4, vcc_lo
	v_add_co_u32 v3, vcc_lo, s8, v3
	v_add_co_ci_u32_e64 v4, null, s9, v4, vcc_lo
	global_load_dwordx2 v[10:11], v[10:11], off offset:-8
	global_load_dwordx4 v[13:16], v[3:4], off offset:-8
	v_add_co_u32 v6, vcc_lo, v6, 4
	v_add_co_ci_u32_e64 v7, null, 0, v7, vcc_lo
	v_cmp_ne_u32_e32 vcc_lo, 0, v5
	global_store_dword v[8:9], v2, off
	v_add_co_u32 v8, s0, v8, 4
	v_add_co_ci_u32_e64 v9, null, 0, v9, s0
	s_or_b32 s4, vcc_lo, s4
	s_waitcnt vmcnt(0)
	v_add_f64 v[15:16], v[15:16], -v[10:11]
	v_add_f64 v[13:14], v[13:14], -v[10:11]
	global_store_dwordx4 v[3:4], v[13:16], off offset:-8
	s_andn2_b32 exec_lo, exec_lo, s4
	s_cbranch_execnz .LBB20_17
; %bb.18:                               ;   in Loop: Header=BB20_3 Depth=1
	s_inst_prefetch 0x2
	s_or_b32 exec_lo, exec_lo, s4
                                        ; implicit-def: $vgpr4_vgpr5
                                        ; implicit-def: $vgpr2_vgpr3
.LBB20_19:                              ;   in Loop: Header=BB20_3 Depth=1
	s_andn2_saveexec_b32 s0, s19
	s_cbranch_execz .LBB20_2
; %bb.20:                               ;   in Loop: Header=BB20_3 Depth=1
	global_store_dword v[4:5], v2, off offset:8
	s_branch .LBB20_2
.LBB20_21:
	s_endpgm
	.section	.rodata,"a",@progbits
	.p2align	6, 0x0
	.amdhsa_kernel _ZN9rocsolver6v33100L20stedcx_divide_kernelIdEEviPT_lS3_lPi
		.amdhsa_group_segment_fixed_size 0
		.amdhsa_private_segment_fixed_size 0
		.amdhsa_kernarg_size 48
		.amdhsa_user_sgpr_count 6
		.amdhsa_user_sgpr_private_segment_buffer 1
		.amdhsa_user_sgpr_dispatch_ptr 0
		.amdhsa_user_sgpr_queue_ptr 0
		.amdhsa_user_sgpr_kernarg_segment_ptr 1
		.amdhsa_user_sgpr_dispatch_id 0
		.amdhsa_user_sgpr_flat_scratch_init 0
		.amdhsa_user_sgpr_private_segment_size 0
		.amdhsa_wavefront_size32 1
		.amdhsa_uses_dynamic_stack 0
		.amdhsa_system_sgpr_private_segment_wavefront_offset 0
		.amdhsa_system_sgpr_workgroup_id_x 1
		.amdhsa_system_sgpr_workgroup_id_y 0
		.amdhsa_system_sgpr_workgroup_id_z 0
		.amdhsa_system_sgpr_workgroup_info 0
		.amdhsa_system_vgpr_workitem_id 0
		.amdhsa_next_free_vgpr 19
		.amdhsa_next_free_sgpr 28
		.amdhsa_reserve_vcc 1
		.amdhsa_reserve_flat_scratch 0
		.amdhsa_float_round_mode_32 0
		.amdhsa_float_round_mode_16_64 0
		.amdhsa_float_denorm_mode_32 3
		.amdhsa_float_denorm_mode_16_64 3
		.amdhsa_dx10_clamp 1
		.amdhsa_ieee_mode 1
		.amdhsa_fp16_overflow 0
		.amdhsa_workgroup_processor_mode 1
		.amdhsa_memory_ordered 1
		.amdhsa_forward_progress 1
		.amdhsa_shared_vgpr_count 0
		.amdhsa_exception_fp_ieee_invalid_op 0
		.amdhsa_exception_fp_denorm_src 0
		.amdhsa_exception_fp_ieee_div_zero 0
		.amdhsa_exception_fp_ieee_overflow 0
		.amdhsa_exception_fp_ieee_underflow 0
		.amdhsa_exception_fp_ieee_inexact 0
		.amdhsa_exception_int_div_zero 0
	.end_amdhsa_kernel
	.section	.text._ZN9rocsolver6v33100L20stedcx_divide_kernelIdEEviPT_lS3_lPi,"axG",@progbits,_ZN9rocsolver6v33100L20stedcx_divide_kernelIdEEviPT_lS3_lPi,comdat
.Lfunc_end20:
	.size	_ZN9rocsolver6v33100L20stedcx_divide_kernelIdEEviPT_lS3_lPi, .Lfunc_end20-_ZN9rocsolver6v33100L20stedcx_divide_kernelIdEEviPT_lS3_lPi
                                        ; -- End function
	.set _ZN9rocsolver6v33100L20stedcx_divide_kernelIdEEviPT_lS3_lPi.num_vgpr, 19
	.set _ZN9rocsolver6v33100L20stedcx_divide_kernelIdEEviPT_lS3_lPi.num_agpr, 0
	.set _ZN9rocsolver6v33100L20stedcx_divide_kernelIdEEviPT_lS3_lPi.numbered_sgpr, 28
	.set _ZN9rocsolver6v33100L20stedcx_divide_kernelIdEEviPT_lS3_lPi.num_named_barrier, 0
	.set _ZN9rocsolver6v33100L20stedcx_divide_kernelIdEEviPT_lS3_lPi.private_seg_size, 0
	.set _ZN9rocsolver6v33100L20stedcx_divide_kernelIdEEviPT_lS3_lPi.uses_vcc, 1
	.set _ZN9rocsolver6v33100L20stedcx_divide_kernelIdEEviPT_lS3_lPi.uses_flat_scratch, 0
	.set _ZN9rocsolver6v33100L20stedcx_divide_kernelIdEEviPT_lS3_lPi.has_dyn_sized_stack, 0
	.set _ZN9rocsolver6v33100L20stedcx_divide_kernelIdEEviPT_lS3_lPi.has_recursion, 0
	.set _ZN9rocsolver6v33100L20stedcx_divide_kernelIdEEviPT_lS3_lPi.has_indirect_call, 0
	.section	.AMDGPU.csdata,"",@progbits
; Kernel info:
; codeLenInByte = 1036
; TotalNumSgprs: 30
; NumVgprs: 19
; ScratchSize: 0
; MemoryBound: 0
; FloatMode: 240
; IeeeMode: 1
; LDSByteSize: 0 bytes/workgroup (compile time only)
; SGPRBlocks: 0
; VGPRBlocks: 2
; NumSGPRsForWavesPerEU: 30
; NumVGPRsForWavesPerEU: 19
; Occupancy: 16
; WaveLimiterHint : 1
; COMPUTE_PGM_RSRC2:SCRATCH_EN: 0
; COMPUTE_PGM_RSRC2:USER_SGPR: 6
; COMPUTE_PGM_RSRC2:TRAP_HANDLER: 0
; COMPUTE_PGM_RSRC2:TGID_X_EN: 1
; COMPUTE_PGM_RSRC2:TGID_Y_EN: 0
; COMPUTE_PGM_RSRC2:TGID_Z_EN: 0
; COMPUTE_PGM_RSRC2:TIDIG_COMP_CNT: 0
	.section	.text._ZN9rocsolver6v33100L19stedcx_solve_kernelIdEEviPT_lS3_lS3_iilPiS3_S4_S2_S2_S2_,"axG",@progbits,_ZN9rocsolver6v33100L19stedcx_solve_kernelIdEEviPT_lS3_lS3_iilPiS3_S4_S2_S2_S2_,comdat
	.globl	_ZN9rocsolver6v33100L19stedcx_solve_kernelIdEEviPT_lS3_lS3_iilPiS3_S4_S2_S2_S2_ ; -- Begin function _ZN9rocsolver6v33100L19stedcx_solve_kernelIdEEviPT_lS3_lS3_iilPiS3_S4_S2_S2_S2_
	.p2align	8
	.type	_ZN9rocsolver6v33100L19stedcx_solve_kernelIdEEviPT_lS3_lS3_iilPiS3_S4_S2_S2_S2_,@function
_ZN9rocsolver6v33100L19stedcx_solve_kernelIdEEviPT_lS3_lS3_iilPiS3_S4_S2_S2_S2_: ; @_ZN9rocsolver6v33100L19stedcx_solve_kernelIdEEviPT_lS3_lS3_iilPiS3_S4_S2_S2_S2_
; %bb.0:
	s_clause 0x3
	s_load_dwordx4 s[28:31], s[4:5], 0x28
	s_load_dwordx8 s[12:19], s[4:5], 0x38
	s_load_dwordx2 s[34:35], s[4:5], 0x68
	s_load_dwordx4 s[36:39], s[4:5], 0x58
	s_mov_b32 s10, s7
	s_waitcnt lgkmcnt(0)
	s_cmp_lg_u64 s[28:29], 0
	s_cbranch_scc0 .LBB21_251
; %bb.1:
	s_ashr_i32 s9, s8, 31
	s_mul_hi_u32 s0, s12, s8
	s_mul_i32 s1, s12, s9
	s_mul_i32 s2, s13, s8
	s_add_i32 s1, s0, s1
	s_mul_i32 s0, s12, s8
	s_add_i32 s1, s1, s2
	s_ashr_i32 s3, s30, 31
	s_lshl_b64 s[0:1], s[0:1], 3
	s_mov_b32 s2, s30
	s_add_u32 s7, s28, s0
	s_addc_u32 s11, s29, s1
	s_lshl_b64 s[0:1], s[2:3], 3
	s_add_u32 s12, s7, s0
	s_addc_u32 s13, s11, s1
	s_cbranch_execnz .LBB21_3
.LBB21_2:
	s_ashr_i32 s9, s8, 31
                                        ; implicit-def: $sgpr12_sgpr13
.LBB21_3:
	s_load_dword s0, s[4:5], 0x0
	s_waitcnt lgkmcnt(0)
	s_mul_i32 s1, s0, 5
	s_add_i32 s1, s1, 2
	s_mul_i32 s2, s1, s8
	s_ashr_i32 s3, s2, 31
	s_lshl_b64 s[2:3], s[2:3], 2
	s_add_u32 s30, s18, s2
	s_addc_u32 s33, s19, s3
	s_ashr_i32 s1, s0, 31
	s_lshl_b64 s[18:19], s[0:1], 2
	s_add_u32 s2, s30, s18
	s_addc_u32 s3, s33, s19
	s_load_dword s62, s[2:3], 0x4
	s_waitcnt lgkmcnt(0)
	s_cmp_ge_i32 s10, s62
	s_cbranch_scc1 .LBB21_250
; %bb.4:
	s_clause 0x1
	s_load_dwordx8 s[20:27], s[4:5], 0x8
	s_load_dword s4, s[4:5], 0x7c
	s_mul_i32 s7, s8, s0
	v_lshlrev_b32_e32 v1, 3, v0
                                        ; implicit-def: $vgpr73 : SGPR spill to VGPR lane
	v_mul_f64 v[5:6], s[36:37], s[36:37]
	v_mov_b32_e32 v8, 0
                                        ; implicit-def: $vgpr60
                                        ; implicit-def: $vgpr17_vgpr18
                                        ; implicit-def: $vgpr19_vgpr20
                                        ; implicit-def: $vgpr21_vgpr22
                                        ; implicit-def: $vgpr9_vgpr10
                                        ; implicit-def: $vgpr59
                                        ; implicit-def: $vgpr15_vgpr16
                                        ; implicit-def: $vgpr58
                                        ; implicit-def: $vgpr11_vgpr12
                                        ; implicit-def: $vgpr13_vgpr14
	s_waitcnt lgkmcnt(0)
	s_mul_i32 s1, s22, s9
	s_mul_hi_u32 s5, s22, s8
	s_mul_i32 s11, s23, s8
	s_add_i32 s1, s5, s1
	s_mul_i32 s0, s22, s8
	s_add_i32 s1, s1, s11
	s_mul_i32 s5, s26, s9
	s_lshl_b64 s[0:1], s[0:1], 3
	s_mul_hi_u32 s11, s26, s8
	s_add_u32 s63, s20, s0
	s_mul_i32 s22, s27, s8
	s_addc_u32 s64, s21, s1
	s_add_i32 s1, s11, s5
	s_mul_i32 s0, s26, s8
	s_add_i32 s1, s1, s22
	s_mov_b32 s5, 0
	s_lshl_b64 s[20:21], s[0:1], 3
	v_cmp_eq_u32_e64 s0, 0, v0
	s_add_u32 s65, s24, s20
	s_addc_u32 s66, s25, s21
	s_lshl_b64 s[8:9], s[8:9], 2
	s_add_u32 s8, s14, s8
	s_addc_u32 s9, s15, s9
	s_lshl_b32 s20, s7, 1
	s_mov_b32 s14, s31
	s_ashr_i32 s21, s20, 31
	s_lshl_b64 s[20:21], s[20:21], 3
	s_add_u32 s67, s16, s20
	s_addc_u32 s68, s17, s21
	s_and_b32 s69, 0xffff, s4
	s_add_u32 s1, s2, s18
	s_addc_u32 s4, s3, s19
	s_ashr_i32 s7, s6, 31
	s_mov_b32 s16, 0x667f3bcd
	s_lshl_b64 s[18:19], s[6:7], 2
	v_add_co_u32 v54, s7, s12, v1
	v_add_co_ci_u32_e64 v55, null, s13, 0, s7
	s_add_u32 s7, s2, s18
	s_addc_u32 s70, s3, s19
	s_add_u32 s71, s1, s18
	s_addc_u32 s72, s4, s19
	s_ashr_i32 s15, s31, 31
	s_add_u32 s1, s63, 8
	s_mov_b32 s17, 0x3ff6a09e
	v_writelane_b32 v73, s1, 0
	s_addc_u32 s1, s64, 0
	s_lshl_b32 s75, s69, 3
	v_writelane_b32 v73, s1, 1
	s_add_u32 s1, s67, -16
	v_writelane_b32 v73, s1, 2
	s_addc_u32 s1, s68, -1
	s_add_u32 s78, s67, -8
	s_addc_u32 s79, s68, -1
	v_writelane_b32 v73, s1, 3
	s_add_u32 s1, s65, -8
	s_addc_u32 s81, s66, -1
	s_lshl_b64 s[18:19], s[14:15], 3
	v_writelane_b32 v73, s1, 4
	v_add_co_u32 v56, s1, s65, v1
	v_add_co_ci_u32_e64 v57, null, s66, 0, s1
	s_sub_u32 s82, 0, s18
	s_subb_u32 s83, 0, s19
	s_add_u32 s84, s63, -8
	s_addc_u32 s85, s64, -1
	s_branch .LBB21_7
.LBB21_5:                               ;   in Loop: Header=BB21_7 Depth=1
	s_inst_prefetch 0x2
	s_or_b32 exec_lo, exec_lo, s2
	s_waitcnt_vscnt null, 0x0
	s_barrier
	buffer_gl0_inv
.LBB21_6:                               ;   in Loop: Header=BB21_7 Depth=1
	s_add_i32 s10, s10, 8
	s_cmp_ge_i32 s10, s62
	s_cbranch_scc1 .LBB21_250
.LBB21_7:                               ; =>This Loop Header: Depth=1
                                        ;     Child Loop BB21_20 Depth 2
                                        ;       Child Loop BB21_28 Depth 3
                                        ;       Child Loop BB21_41 Depth 3
	;; [unrolled: 1-line block ×5, first 2 shown]
                                        ;         Child Loop BB21_170 Depth 4
                                        ;         Child Loop BB21_190 Depth 4
	;; [unrolled: 1-line block ×3, first 2 shown]
                                        ;           Child Loop BB21_242 Depth 5
                                        ;       Child Loop BB21_81 Depth 3
                                        ;         Child Loop BB21_88 Depth 4
                                        ;         Child Loop BB21_108 Depth 4
	;; [unrolled: 1-line block ×3, first 2 shown]
                                        ;           Child Loop BB21_160 Depth 5
                                        ;       Child Loop BB21_71 Depth 3
                                        ;       Child Loop BB21_78 Depth 3
                                        ;     Child Loop BB21_247 Depth 2
	s_ashr_i32 s11, s10, 31
	s_lshl_b64 s[2:3], s[10:11], 2
	s_add_u32 s2, s30, s2
	s_addc_u32 s3, s33, s3
	global_load_dwordx2 v[1:2], v8, s[2:3]
	s_waitcnt vmcnt(0)
	v_readfirstlane_b32 s2, v1
	v_readfirstlane_b32 s1, v2
	s_sub_i32 s11, s1, s2
	s_mov_b32 s1, s5
	s_cmp_lt_i32 s11, 3
	s_cbranch_scc1 .LBB21_12
; %bb.8:                                ;   in Loop: Header=BB21_7 Depth=1
	s_cmp_lt_u32 s11, 5
	s_mov_b32 s1, 1
	s_cbranch_scc1 .LBB21_12
; %bb.9:                                ;   in Loop: Header=BB21_7 Depth=1
	s_cmp_lt_u32 s11, 33
	s_mov_b32 s1, 2
	s_cbranch_scc1 .LBB21_12
; %bb.10:                               ;   in Loop: Header=BB21_7 Depth=1
	s_cmpk_lt_u32 s11, 0xe9
	s_mov_b32 s1, 4
	s_cbranch_scc1 .LBB21_12
; %bb.11:                               ;   in Loop: Header=BB21_7 Depth=1
	s_cmpk_lt_u32 s11, 0x128
	s_cselect_b32 s1, 5, 7
	s_cmpk_lt_u32 s11, 0x79b
	s_cselect_b32 s1, s1, 8
.LBB21_12:                              ;   in Loop: Header=BB21_7 Depth=1
	s_lshl_b32 s1, 1, s1
	s_cmp_ge_i32 s6, s1
	s_cbranch_scc1 .LBB21_6
; %bb.13:                               ;   in Loop: Header=BB21_7 Depth=1
	s_ashr_i32 s3, s2, 31
	s_lshl_b64 s[2:3], s[2:3], 2
	s_add_u32 s20, s7, s2
	s_addc_u32 s21, s70, s3
	s_add_u32 s2, s71, s2
	s_addc_u32 s3, s72, s3
	s_clause 0x1
	global_load_dword v1, v8, s[20:21] offset:8
	global_load_dword v2, v8, s[2:3] offset:8
	s_waitcnt vmcnt(1)
	v_readfirstlane_b32 s24, v1
	s_waitcnt vmcnt(0)
	v_readfirstlane_b32 s22, v2
	s_and_saveexec_b32 s1, s0
; %bb.14:                               ;   in Loop: Header=BB21_7 Depth=1
	ds_write2_b32 v8, v8, v8 offset0:6 offset1:9
; %bb.15:                               ;   in Loop: Header=BB21_7 Depth=1
	s_or_b32 exec_lo, exec_lo, s1
	s_waitcnt lgkmcnt(0)
	s_barrier
	buffer_gl0_inv
	ds_read2_b32 v[1:2], v8 offset0:6 offset1:9
	s_mul_i32 s11, s11, 30
	s_ashr_i32 s23, s22, 31
	s_add_i32 s20, s24, -1
	s_waitcnt lgkmcnt(0)
	v_cmp_gt_i32_e32 vcc_lo, s24, v1
	v_cmp_gt_i32_e64 s1, s11, v2
	v_readfirstlane_b32 s52, v1
	s_and_b32 s1, vcc_lo, s1
	s_andn2_b32 vcc_lo, exec_lo, s1
	s_cbranch_vccnz .LBB21_244
; %bb.16:                               ;   in Loop: Header=BB21_7 Depth=1
	s_lshl_b64 s[26:27], s[22:23], 3
	s_mul_i32 s2, s22, s31
	s_add_u32 s28, s63, s26
	s_addc_u32 s29, s64, s27
	s_add_u32 s86, s65, s26
	s_addc_u32 s87, s66, s27
	;; [unrolled: 2-line block ×3, first 2 shown]
	s_ashr_i32 s3, s2, 31
	s_lshl_b64 s[2:3], s[2:3], 3
	s_add_u32 s88, s1, s2
	s_addc_u32 s89, s4, s3
	s_lshl_b32 s40, s22, 1
	v_readlane_b32 s1, v73, 0
	s_ashr_i32 s41, s40, 31
	s_lshl_b64 s[50:51], s[40:41], 3
	s_add_u32 s40, s67, s50
	s_addc_u32 s41, s68, s51
	s_ashr_i32 s25, s24, 31
	s_add_u32 s90, s65, s26
	s_addc_u32 s91, s66, s27
	s_add_u32 s92, s1, s26
	v_readlane_b32 s1, v73, 1
	s_addc_u32 s93, s1, s27
	s_add_u32 s94, s63, s26
	s_addc_u32 s95, s64, s27
	s_lshl_b64 s[42:43], s[24:25], 3
	v_readlane_b32 s25, v73, 2
	s_add_u32 s4, s42, s50
	s_addc_u32 s21, s43, s51
	v_cmp_gt_i32_e64 s1, s24, v0
	s_add_u32 s44, s25, s4
	v_readlane_b32 s25, v73, 3
	s_addc_u32 s45, s25, s21
	v_readlane_b32 s25, v73, 4
	s_add_u32 s46, s78, s50
	s_addc_u32 s47, s79, s51
	s_add_u32 s48, s25, s26
	s_addc_u32 s49, s81, s27
	s_add_u32 s25, s42, -8
	s_addc_u32 s96, s43, -1
	s_add_u32 s97, s67, s50
	s_addc_u32 s98, s68, s51
	s_add_u32 s2, s26, s2
	s_addc_u32 s3, s27, s3
	v_add_co_u32 v61, vcc_lo, v54, s2
	v_add_co_ci_u32_e64 v62, null, s3, v55, vcc_lo
	s_add_u32 s99, s84, s26
	s_addc_u32 s104, s85, s27
	s_add_u32 s50, s78, s4
	s_addc_u32 s51, s79, s21
	s_branch .LBB21_20
.LBB21_17:                              ;   in Loop: Header=BB21_20 Depth=2
	s_or_b32 exec_lo, exec_lo, s3
.LBB21_18:                              ;   in Loop: Header=BB21_20 Depth=2
	s_waitcnt_vscnt null, 0x0
	s_barrier
	buffer_gl0_inv
.LBB21_19:                              ;   in Loop: Header=BB21_20 Depth=2
	ds_read2_b32 v[1:2], v8 offset0:6 offset1:9
	s_waitcnt lgkmcnt(0)
	v_cmp_gt_i32_e32 vcc_lo, s24, v1
	v_cmp_gt_i32_e64 s2, s11, v2
	v_readfirstlane_b32 s52, v1
	s_and_b32 s2, vcc_lo, s2
	s_andn2_b32 vcc_lo, exec_lo, s2
	s_cbranch_vccnz .LBB21_244
.LBB21_20:                              ;   Parent Loop BB21_7 Depth=1
                                        ; =>  This Loop Header: Depth=2
                                        ;       Child Loop BB21_28 Depth 3
                                        ;       Child Loop BB21_41 Depth 3
                                        ;       Child Loop BB21_51 Depth 3
                                        ;       Child Loop BB21_59 Depth 3
                                        ;       Child Loop BB21_164 Depth 3
                                        ;         Child Loop BB21_170 Depth 4
                                        ;         Child Loop BB21_190 Depth 4
	;; [unrolled: 1-line block ×3, first 2 shown]
                                        ;           Child Loop BB21_242 Depth 5
                                        ;       Child Loop BB21_81 Depth 3
                                        ;         Child Loop BB21_88 Depth 4
                                        ;         Child Loop BB21_108 Depth 4
	;; [unrolled: 1-line block ×3, first 2 shown]
                                        ;           Child Loop BB21_160 Depth 5
                                        ;       Child Loop BB21_71 Depth 3
                                        ;       Child Loop BB21_78 Depth 3
	s_and_saveexec_b32 s4, s0
	s_cbranch_execz .LBB21_44
; %bb.21:                               ;   in Loop: Header=BB21_20 Depth=2
	s_cmp_lt_i32 s52, 1
	s_cbranch_scc1 .LBB21_23
; %bb.22:                               ;   in Loop: Header=BB21_20 Depth=2
	s_mov_b32 s53, s5
	v_mov_b32_e32 v7, v8
	s_lshl_b64 s[2:3], s[52:53], 3
	s_add_u32 s2, s86, s2
	s_addc_u32 s3, s87, s3
	global_store_dwordx2 v8, v[7:8], s[2:3] offset:-8
.LBB21_23:                              ;   in Loop: Header=BB21_20 Depth=2
	s_mov_b32 s2, -1
	s_mov_b32 s58, 0
	s_cmp_lt_i32 s52, s20
	s_mov_b32 s73, 0
	s_cbranch_scc1 .LBB21_25
; %bb.24:                               ;   in Loop: Header=BB21_20 Depth=2
	s_ashr_i32 s53, s52, 31
	s_mov_b32 s2, 0
	s_mov_b32 s73, -1
.LBB21_25:                              ;   in Loop: Header=BB21_20 Depth=2
	s_andn2_b32 vcc_lo, exec_lo, s2
	s_cbranch_vccnz .LBB21_30
; %bb.26:                               ;   in Loop: Header=BB21_20 Depth=2
	s_ashr_i32 s53, s52, 31
	s_lshl_b64 s[2:3], s[52:53], 3
	s_mov_b64 s[58:59], s[52:53]
	s_add_u32 s60, s90, s2
	s_addc_u32 s61, s91, s3
	s_add_u32 s56, s92, s2
	s_addc_u32 s57, s93, s3
	s_branch .LBB21_28
.LBB21_27:                              ;   in Loop: Header=BB21_28 Depth=3
	s_andn2_b32 vcc_lo, exec_lo, s74
	s_cbranch_vccz .LBB21_31
.LBB21_28:                              ;   Parent Loop BB21_7 Depth=1
                                        ;     Parent Loop BB21_20 Depth=2
                                        ; =>    This Inner Loop Header: Depth=3
	s_clause 0x1
	global_load_dwordx4 v[1:4], v8, s[56:57] offset:-8
	global_load_dwordx2 v[17:18], v8, s[60:61]
	s_mov_b64 s[54:55], s[60:61]
	s_mov_b32 s74, -1
	s_waitcnt vmcnt(1)
	v_cmp_gt_f64_e64 s2, 0x10000000, |v[1:2]|
	v_cmp_gt_f64_e64 s3, 0x10000000, |v[3:4]|
	s_and_b32 s2, s2, exec_lo
	s_cselect_b32 s2, 0x100, 0
	s_cselect_b32 s21, 0xffffff80, 0
	s_and_b32 s3, s3, exec_lo
	s_cselect_b32 s3, 0x100, 0
	v_ldexp_f64 v[1:2], |v[1:2]|, s2
	v_ldexp_f64 v[3:4], |v[3:4]|, s3
	s_cselect_b32 s2, 0xffffff80, 0
	v_rsq_f64_e32 v[19:20], v[1:2]
	v_rsq_f64_e32 v[21:22], v[3:4]
	v_cmp_class_f64_e64 vcc_lo, v[1:2], 0x260
	v_mul_f64 v[23:24], v[1:2], v[19:20]
	v_mul_f64 v[19:20], v[19:20], 0.5
	v_mul_f64 v[25:26], v[3:4], v[21:22]
	v_mul_f64 v[21:22], v[21:22], 0.5
	v_fma_f64 v[27:28], -v[19:20], v[23:24], 0.5
	v_fma_f64 v[29:30], -v[21:22], v[25:26], 0.5
	v_fma_f64 v[23:24], v[23:24], v[27:28], v[23:24]
	v_fma_f64 v[19:20], v[19:20], v[27:28], v[19:20]
	;; [unrolled: 1-line block ×4, first 2 shown]
	v_fma_f64 v[27:28], -v[23:24], v[23:24], v[1:2]
	v_fma_f64 v[29:30], -v[25:26], v[25:26], v[3:4]
	v_fma_f64 v[23:24], v[27:28], v[19:20], v[23:24]
	v_fma_f64 v[25:26], v[29:30], v[21:22], v[25:26]
	v_fma_f64 v[27:28], -v[23:24], v[23:24], v[1:2]
	v_fma_f64 v[29:30], -v[25:26], v[25:26], v[3:4]
	v_fma_f64 v[19:20], v[27:28], v[19:20], v[23:24]
	v_fma_f64 v[21:22], v[29:30], v[21:22], v[25:26]
	v_ldexp_f64 v[19:20], v[19:20], s21
	s_mov_b32 s21, -1
	v_ldexp_f64 v[21:22], v[21:22], s2
	v_cmp_class_f64_e64 s2, v[3:4], 0x260
	v_cndmask_b32_e32 v2, v20, v2, vcc_lo
	v_cndmask_b32_e32 v1, v19, v1, vcc_lo
	v_cndmask_b32_e64 v4, v22, v4, s2
	v_cndmask_b32_e64 v3, v21, v3, s2
	s_mov_b64 s[2:3], s[58:59]
                                        ; implicit-def: $sgpr58_sgpr59
	v_mul_f64 v[1:2], v[1:2], v[3:4]
	v_mul_f64 v[1:2], s[36:37], v[1:2]
	s_waitcnt vmcnt(0)
	v_cmp_nle_f64_e64 s60, |v[17:18]|, v[1:2]
	s_and_b32 vcc_lo, exec_lo, s60
                                        ; implicit-def: $sgpr60_sgpr61
	s_cbranch_vccz .LBB21_27
; %bb.29:                               ;   in Loop: Header=BB21_28 Depth=3
	s_add_u32 s58, s2, 1
	s_addc_u32 s59, s3, 0
	s_add_u32 s60, s54, 8
	s_addc_u32 s61, s55, 0
	;; [unrolled: 2-line block ×3, first 2 shown]
	s_cmp_ge_i32 s58, s20
	s_mov_b32 s21, 0
	s_cselect_b32 s74, -1, 0
	s_branch .LBB21_27
.LBB21_30:                              ;   in Loop: Header=BB21_20 Depth=2
	s_mov_b32 s2, s52
	s_mov_b64 s[56:57], s[52:53]
	s_and_b32 vcc_lo, exec_lo, s73
	s_cbranch_vccnz .LBB21_34
	s_branch .LBB21_35
.LBB21_31:                              ;   in Loop: Header=BB21_20 Depth=2
	s_xor_b32 s21, s21, -1
	s_mov_b32 s58, -1
	s_and_b32 vcc_lo, exec_lo, s21
                                        ; implicit-def: $sgpr56_sgpr57
	s_cbranch_vccz .LBB21_33
; %bb.32:                               ;   in Loop: Header=BB21_20 Depth=2
	s_ashr_i32 s21, s20, 31
	s_mov_b32 s73, -1
	s_mov_b32 s58, 0
	s_mov_b64 s[56:57], s[20:21]
.LBB21_33:                              ;   in Loop: Header=BB21_20 Depth=2
	v_mov_b32_e32 v18, s3
	v_mov_b32_e32 v19, s54
	;; [unrolled: 1-line block ×7, first 2 shown]
	s_mov_b32 s2, s20
	s_and_b32 vcc_lo, exec_lo, s73
	s_cbranch_vccz .LBB21_35
.LBB21_34:                              ;   in Loop: Header=BB21_20 Depth=2
	v_mov_b32_e32 v1, s2
	ds_write_b32 v8, v1 offset:20
.LBB21_35:                              ;   in Loop: Header=BB21_20 Depth=2
	v_mov_b32_e32 v1, s52
	v_mov_b32_e32 v3, s56
	;; [unrolled: 1-line block ×5, first 2 shown]
	s_andn2_b32 vcc_lo, exec_lo, s58
	s_cbranch_vccnz .LBB21_37
; %bb.36:                               ;   in Loop: Header=BB21_20 Depth=2
	v_mov_b32_e32 v1, v21
	v_mov_b32_e32 v3, v17
	;; [unrolled: 1-line block ×6, first 2 shown]
	ds_write_b32 v8, v60 offset:20
	global_store_dwordx2 v[19:20], v[7:8], off
.LBB21_37:                              ;   in Loop: Header=BB21_20 Depth=2
	v_lshlrev_b64 v[3:4], 3, v[3:4]
	v_lshlrev_b64 v[23:24], 3, v[1:2]
	v_add_co_u32 v1, vcc_lo, s28, v3
	v_add_co_ci_u32_e64 v2, null, s29, v4, vcc_lo
	v_add_co_u32 v3, vcc_lo, s28, v23
	v_add_co_ci_u32_e64 v4, null, s29, v24, vcc_lo
	s_clause 0x1
	global_load_dwordx2 v[1:2], v[1:2], off
	global_load_dwordx2 v[3:4], v[3:4], off
	s_waitcnt vmcnt(0)
	v_cmp_lt_f64_e64 s3, |v[1:2]|, |v[3:4]|
	v_mov_b32_e32 v4, s52
	v_add_nc_u32_e32 v3, 1, v25
	ds_write_b32 v8, v4 offset:16
	ds_write2_b32 v8, v25, v25 offset0:8 offset1:10
	ds_write_b64 v8, v[3:4] offset:24
	s_and_saveexec_b32 s2, s3
; %bb.38:                               ;   in Loop: Header=BB21_20 Depth=2
	v_mov_b32_e32 v3, s52
	ds_write2_b32 v8, v25, v3 offset0:4 offset1:8
; %bb.39:                               ;   in Loop: Header=BB21_20 Depth=2
	s_or_b32 exec_lo, exec_lo, s2
	v_and_b32_e32 v2, 0x7fffffff, v2
	s_mov_b32 s3, exec_lo
	v_cmpx_lt_i32_e64 s52, v25
	s_cbranch_execz .LBB21_43
; %bb.40:                               ;   in Loop: Header=BB21_20 Depth=2
	v_add_co_u32 v3, vcc_lo, s94, v23
	v_add_co_ci_u32_e64 v4, null, s95, v24, vcc_lo
	v_add_co_u32 v23, vcc_lo, s90, v23
	v_add_co_ci_u32_e64 v24, null, s91, v24, vcc_lo
	s_mov_b32 s21, 0
	.p2align	6
.LBB21_41:                              ;   Parent Loop BB21_7 Depth=1
                                        ;     Parent Loop BB21_20 Depth=2
                                        ; =>    This Inner Loop Header: Depth=3
	global_load_dwordx2 v[26:27], v[23:24], off
	global_load_dwordx2 v[28:29], v[3:4], off
	v_max_f64 v[1:2], v[1:2], v[1:2]
	s_add_i32 s52, s52, 1
	v_add_co_u32 v3, vcc_lo, v3, 8
	v_add_co_ci_u32_e64 v4, null, 0, v4, vcc_lo
	v_cmp_ge_i32_e32 vcc_lo, s52, v25
	v_add_co_u32 v23, s2, v23, 8
	v_add_co_ci_u32_e64 v24, null, 0, v24, s2
	s_or_b32 s21, vcc_lo, s21
	s_waitcnt vmcnt(1)
	v_max_f64 v[26:27], |v[26:27]|, |v[26:27]|
	s_waitcnt vmcnt(0)
	v_max_f64 v[28:29], |v[28:29]|, |v[28:29]|
	v_max_f64 v[26:27], v[28:29], v[26:27]
	v_max_f64 v[1:2], v[1:2], v[26:27]
	s_andn2_b32 exec_lo, exec_lo, s21
	s_cbranch_execnz .LBB21_41
; %bb.42:                               ;   in Loop: Header=BB21_20 Depth=2
	s_or_b32 exec_lo, exec_lo, s21
.LBB21_43:                              ;   in Loop: Header=BB21_20 Depth=2
	s_or_b32 exec_lo, exec_lo, s3
	ds_write_b64 v8, v[1:2] offset:8
.LBB21_44:                              ;   in Loop: Header=BB21_20 Depth=2
	s_or_b32 exec_lo, exec_lo, s4
	s_waitcnt lgkmcnt(0)
	s_waitcnt_vscnt null, 0x0
	s_barrier
	buffer_gl0_inv
	ds_read_b64 v[1:2], v8 offset:8
	ds_read2_b32 v[3:4], v8 offset0:4 offset1:8
	s_waitcnt lgkmcnt(1)
	v_cmp_eq_f64_e32 vcc_lo, 0, v[1:2]
	s_waitcnt lgkmcnt(0)
	v_cmp_eq_u32_e64 s2, v4, v3
	s_or_b32 s2, s2, vcc_lo
	s_and_b32 vcc_lo, exec_lo, s2
	s_cbranch_vccnz .LBB21_19
; %bb.45:                               ;   in Loop: Header=BB21_20 Depth=2
	v_cmp_nlt_f64_e32 vcc_lo, s[34:35], v[1:2]
	s_mov_b32 s2, -1
	s_cbranch_vccz .LBB21_54
; %bb.46:                               ;   in Loop: Header=BB21_20 Depth=2
	v_cmp_ngt_f64_e32 vcc_lo, s[38:39], v[1:2]
	s_cbranch_vccnz .LBB21_53
; %bb.47:                               ;   in Loop: Header=BB21_20 Depth=2
	v_div_scale_f64 v[3:4], null, s[38:39], s[38:39], v[1:2]
	v_rcp_f64_e32 v[23:24], v[3:4]
	v_fma_f64 v[25:26], -v[3:4], v[23:24], 1.0
	v_fma_f64 v[23:24], v[23:24], v[25:26], v[23:24]
	v_fma_f64 v[25:26], -v[3:4], v[23:24], 1.0
	v_fma_f64 v[23:24], v[23:24], v[25:26], v[23:24]
	v_div_scale_f64 v[25:26], vcc_lo, v[1:2], s[38:39], v[1:2]
	v_mul_f64 v[27:28], v[25:26], v[23:24]
	v_fma_f64 v[3:4], -v[3:4], v[27:28], v[25:26]
	v_div_fmas_f64 v[3:4], v[3:4], v[23:24], v[27:28]
	ds_read2_b32 v[23:24], v8 offset0:7 offset1:10
	v_div_fixup_f64 v[3:4], v[3:4], s[38:39], v[1:2]
	s_and_saveexec_b32 s2, s0
	s_cbranch_execz .LBB21_49
; %bb.48:                               ;   in Loop: Header=BB21_20 Depth=2
	s_waitcnt lgkmcnt(0)
	v_ashrrev_i32_e32 v26, 31, v24
	v_mov_b32_e32 v25, v24
	v_lshlrev_b64 v[25:26], 3, v[25:26]
	v_add_co_u32 v25, vcc_lo, s28, v25
	v_add_co_ci_u32_e64 v26, null, s29, v26, vcc_lo
	global_load_dwordx2 v[27:28], v[25:26], off
	s_waitcnt vmcnt(0)
	v_mul_f64 v[27:28], v[3:4], v[27:28]
	global_store_dwordx2 v[25:26], v[27:28], off
.LBB21_49:                              ;   in Loop: Header=BB21_20 Depth=2
	s_or_b32 exec_lo, exec_lo, s2
	s_waitcnt lgkmcnt(0)
	v_add_nc_u32_e32 v25, v23, v0
	s_mov_b32 s3, exec_lo
	v_cmpx_lt_i32_e64 v25, v24
	s_cbranch_execz .LBB21_52
; %bb.50:                               ;   in Loop: Header=BB21_20 Depth=2
	v_ashrrev_i32_e32 v26, 31, v25
	s_mov_b32 s4, 0
	v_lshlrev_b64 v[26:27], 3, v[25:26]
	v_add_co_u32 v7, vcc_lo, s26, v26
	v_add_co_ci_u32_e64 v23, null, s27, v27, vcc_lo
	.p2align	6
.LBB21_51:                              ;   Parent Loop BB21_7 Depth=1
                                        ;     Parent Loop BB21_20 Depth=2
                                        ; =>    This Inner Loop Header: Depth=3
	v_add_co_u32 v26, vcc_lo, s63, v7
	v_add_co_ci_u32_e64 v27, null, s64, v23, vcc_lo
	v_add_co_u32 v30, vcc_lo, s65, v7
	v_add_co_ci_u32_e64 v31, null, s66, v23, vcc_lo
	global_load_dwordx2 v[28:29], v[26:27], off
	v_add_nc_u32_e32 v25, s69, v25
	v_add_co_u32 v7, s2, v7, s75
	v_add_co_ci_u32_e64 v23, null, 0, v23, s2
	v_cmp_ge_i32_e32 vcc_lo, v25, v24
	s_or_b32 s4, vcc_lo, s4
	s_waitcnt vmcnt(0)
	v_mul_f64 v[28:29], v[3:4], v[28:29]
	global_store_dwordx2 v[26:27], v[28:29], off
	global_load_dwordx2 v[26:27], v[30:31], off
	s_waitcnt vmcnt(0)
	v_mul_f64 v[26:27], v[3:4], v[26:27]
	global_store_dwordx2 v[30:31], v[26:27], off
	s_andn2_b32 exec_lo, exec_lo, s4
	s_cbranch_execnz .LBB21_51
.LBB21_52:                              ;   in Loop: Header=BB21_20 Depth=2
	s_or_b32 exec_lo, exec_lo, s3
.LBB21_53:                              ;   in Loop: Header=BB21_20 Depth=2
	s_mov_b32 s2, 0
.LBB21_54:                              ;   in Loop: Header=BB21_20 Depth=2
	s_andn2_b32 vcc_lo, exec_lo, s2
	s_cbranch_vccnz .LBB21_61
; %bb.55:                               ;   in Loop: Header=BB21_20 Depth=2
	v_div_scale_f64 v[3:4], null, s[34:35], s[34:35], v[1:2]
	v_rcp_f64_e32 v[23:24], v[3:4]
	v_fma_f64 v[25:26], -v[3:4], v[23:24], 1.0
	v_fma_f64 v[23:24], v[23:24], v[25:26], v[23:24]
	v_fma_f64 v[25:26], -v[3:4], v[23:24], 1.0
	v_fma_f64 v[23:24], v[23:24], v[25:26], v[23:24]
	v_div_scale_f64 v[25:26], vcc_lo, v[1:2], s[34:35], v[1:2]
	v_mul_f64 v[27:28], v[25:26], v[23:24]
	v_fma_f64 v[3:4], -v[3:4], v[27:28], v[25:26]
	v_div_fmas_f64 v[3:4], v[3:4], v[23:24], v[27:28]
	v_div_fixup_f64 v[1:2], v[3:4], s[34:35], v[1:2]
	ds_read2_b32 v[3:4], v8 offset0:7 offset1:10
	s_and_saveexec_b32 s2, s0
	s_cbranch_execz .LBB21_57
; %bb.56:                               ;   in Loop: Header=BB21_20 Depth=2
	s_waitcnt lgkmcnt(0)
	v_ashrrev_i32_e32 v24, 31, v4
	v_mov_b32_e32 v23, v4
	v_lshlrev_b64 v[23:24], 3, v[23:24]
	v_add_co_u32 v23, vcc_lo, s28, v23
	v_add_co_ci_u32_e64 v24, null, s29, v24, vcc_lo
	global_load_dwordx2 v[25:26], v[23:24], off
	s_waitcnt vmcnt(0)
	v_mul_f64 v[25:26], v[1:2], v[25:26]
	global_store_dwordx2 v[23:24], v[25:26], off
.LBB21_57:                              ;   in Loop: Header=BB21_20 Depth=2
	s_or_b32 exec_lo, exec_lo, s2
	s_waitcnt lgkmcnt(0)
	v_add_nc_u32_e32 v23, v3, v0
	s_mov_b32 s3, exec_lo
	v_cmpx_lt_i32_e64 v23, v4
	s_cbranch_execz .LBB21_60
; %bb.58:                               ;   in Loop: Header=BB21_20 Depth=2
	v_ashrrev_i32_e32 v24, 31, v23
	s_mov_b32 s4, 0
	v_lshlrev_b64 v[24:25], 3, v[23:24]
	v_add_co_u32 v3, vcc_lo, s26, v24
	v_add_co_ci_u32_e64 v7, null, s27, v25, vcc_lo
	.p2align	6
.LBB21_59:                              ;   Parent Loop BB21_7 Depth=1
                                        ;     Parent Loop BB21_20 Depth=2
                                        ; =>    This Inner Loop Header: Depth=3
	v_add_co_u32 v24, vcc_lo, s63, v3
	v_add_co_ci_u32_e64 v25, null, s64, v7, vcc_lo
	v_add_co_u32 v28, vcc_lo, s65, v3
	v_add_co_ci_u32_e64 v29, null, s66, v7, vcc_lo
	global_load_dwordx2 v[26:27], v[24:25], off
	v_add_nc_u32_e32 v23, s69, v23
	v_add_co_u32 v3, s2, v3, s75
	v_add_co_ci_u32_e64 v7, null, 0, v7, s2
	v_cmp_ge_i32_e32 vcc_lo, v23, v4
	s_or_b32 s4, vcc_lo, s4
	s_waitcnt vmcnt(0)
	v_mul_f64 v[26:27], v[1:2], v[26:27]
	global_store_dwordx2 v[24:25], v[26:27], off
	global_load_dwordx2 v[24:25], v[28:29], off
	s_waitcnt vmcnt(0)
	v_mul_f64 v[24:25], v[1:2], v[24:25]
	global_store_dwordx2 v[28:29], v[24:25], off
	s_andn2_b32 exec_lo, exec_lo, s4
	s_cbranch_execnz .LBB21_59
.LBB21_60:                              ;   in Loop: Header=BB21_20 Depth=2
	s_or_b32 exec_lo, exec_lo, s3
.LBB21_61:                              ;   in Loop: Header=BB21_20 Depth=2
	s_waitcnt_vscnt null, 0x0
	s_barrier
	buffer_gl0_inv
	ds_read_b64 v[25:26], v8 offset:32
	ds_read_b32 v23, v8 offset:16
	s_mov_b32 s4, -1
                                        ; implicit-def: $vgpr29_vgpr30
                                        ; implicit-def: $vgpr27_vgpr28
                                        ; implicit-def: $vgpr24
	s_waitcnt lgkmcnt(1)
	v_cmp_gt_i32_e64 s2, s11, v26
	s_waitcnt lgkmcnt(0)
	v_cmp_lt_i32_e32 vcc_lo, v25, v23
	v_cndmask_b32_e64 v1, 0, 1, s2
	v_cmp_ne_u32_e64 s3, 1, v1
	s_cbranch_vccnz .LBB21_64
; %bb.62:                               ;   in Loop: Header=BB21_20 Depth=2
	v_mov_b32_e32 v30, v14
	v_mov_b32_e32 v28, v12
	;; [unrolled: 1-line block ×8, first 2 shown]
	s_and_b32 vcc_lo, exec_lo, s3
	s_cbranch_vccz .LBB21_164
.LBB21_63:                              ;   in Loop: Header=BB21_20 Depth=2
	s_mov_b32 s4, 0
.LBB21_64:                              ;   in Loop: Header=BB21_20 Depth=2
	s_andn2_b32 vcc_lo, exec_lo, s4
	s_cbranch_vccz .LBB21_81
; %bb.65:                               ;   in Loop: Header=BB21_20 Depth=2
	v_mov_b32_e32 v11, v27
	v_mov_b32_e32 v13, v29
	;; [unrolled: 1-line block ×5, first 2 shown]
.LBB21_66:                              ;   in Loop: Header=BB21_20 Depth=2
	s_barrier
	buffer_gl0_inv
	ds_read_b64 v[1:2], v8 offset:8
	s_waitcnt lgkmcnt(0)
	v_cmp_nlt_f64_e32 vcc_lo, s[34:35], v[1:2]
	s_cbranch_vccnz .LBB21_73
; %bb.67:                               ;   in Loop: Header=BB21_20 Depth=2
	v_div_scale_f64 v[3:4], null, v[1:2], v[1:2], s[34:35]
	v_rcp_f64_e32 v[23:24], v[3:4]
	v_fma_f64 v[25:26], -v[3:4], v[23:24], 1.0
	v_fma_f64 v[23:24], v[23:24], v[25:26], v[23:24]
	v_fma_f64 v[25:26], -v[3:4], v[23:24], 1.0
	v_fma_f64 v[23:24], v[23:24], v[25:26], v[23:24]
	v_div_scale_f64 v[25:26], vcc_lo, s[34:35], v[1:2], s[34:35]
	v_mul_f64 v[27:28], v[25:26], v[23:24]
	v_fma_f64 v[3:4], -v[3:4], v[27:28], v[25:26]
	v_div_fmas_f64 v[3:4], v[3:4], v[23:24], v[27:28]
	ds_read2_b32 v[23:24], v8 offset0:7 offset1:10
	v_div_fixup_f64 v[3:4], v[3:4], v[1:2], s[34:35]
	s_and_saveexec_b32 s2, s0
	s_cbranch_execz .LBB21_69
; %bb.68:                               ;   in Loop: Header=BB21_20 Depth=2
	s_waitcnt lgkmcnt(0)
	v_ashrrev_i32_e32 v26, 31, v24
	v_mov_b32_e32 v25, v24
	v_lshlrev_b64 v[25:26], 3, v[25:26]
	v_add_co_u32 v25, vcc_lo, s28, v25
	v_add_co_ci_u32_e64 v26, null, s29, v26, vcc_lo
	global_load_dwordx2 v[27:28], v[25:26], off
	s_waitcnt vmcnt(0)
	v_mul_f64 v[27:28], v[3:4], v[27:28]
	global_store_dwordx2 v[25:26], v[27:28], off
.LBB21_69:                              ;   in Loop: Header=BB21_20 Depth=2
	s_or_b32 exec_lo, exec_lo, s2
	s_waitcnt lgkmcnt(0)
	v_add_nc_u32_e32 v25, v23, v0
	s_mov_b32 s3, exec_lo
	v_cmpx_lt_i32_e64 v25, v24
	s_cbranch_execz .LBB21_72
; %bb.70:                               ;   in Loop: Header=BB21_20 Depth=2
	v_ashrrev_i32_e32 v26, 31, v25
	s_mov_b32 s4, 0
	v_lshlrev_b64 v[26:27], 3, v[25:26]
	v_add_co_u32 v7, vcc_lo, s26, v26
	v_add_co_ci_u32_e64 v23, null, s27, v27, vcc_lo
	.p2align	6
.LBB21_71:                              ;   Parent Loop BB21_7 Depth=1
                                        ;     Parent Loop BB21_20 Depth=2
                                        ; =>    This Inner Loop Header: Depth=3
	v_add_co_u32 v26, vcc_lo, s63, v7
	v_add_co_ci_u32_e64 v27, null, s64, v23, vcc_lo
	v_add_co_u32 v30, vcc_lo, s65, v7
	v_add_co_ci_u32_e64 v31, null, s66, v23, vcc_lo
	global_load_dwordx2 v[28:29], v[26:27], off
	v_add_nc_u32_e32 v25, s69, v25
	v_add_co_u32 v7, s2, v7, s75
	v_add_co_ci_u32_e64 v23, null, 0, v23, s2
	v_cmp_ge_i32_e32 vcc_lo, v25, v24
	s_or_b32 s4, vcc_lo, s4
	s_waitcnt vmcnt(0)
	v_mul_f64 v[28:29], v[3:4], v[28:29]
	global_store_dwordx2 v[26:27], v[28:29], off
	global_load_dwordx2 v[26:27], v[30:31], off
	s_waitcnt vmcnt(0)
	v_mul_f64 v[26:27], v[3:4], v[26:27]
	global_store_dwordx2 v[30:31], v[26:27], off
	s_andn2_b32 exec_lo, exec_lo, s4
	s_cbranch_execnz .LBB21_71
.LBB21_72:                              ;   in Loop: Header=BB21_20 Depth=2
	s_or_b32 exec_lo, exec_lo, s3
.LBB21_73:                              ;   in Loop: Header=BB21_20 Depth=2
	v_cmp_ngt_f64_e32 vcc_lo, s[38:39], v[1:2]
	s_cbranch_vccnz .LBB21_18
; %bb.74:                               ;   in Loop: Header=BB21_20 Depth=2
	v_div_scale_f64 v[3:4], null, v[1:2], v[1:2], s[38:39]
	v_rcp_f64_e32 v[23:24], v[3:4]
	v_fma_f64 v[25:26], -v[3:4], v[23:24], 1.0
	v_fma_f64 v[23:24], v[23:24], v[25:26], v[23:24]
	v_fma_f64 v[25:26], -v[3:4], v[23:24], 1.0
	v_fma_f64 v[23:24], v[23:24], v[25:26], v[23:24]
	v_div_scale_f64 v[25:26], vcc_lo, s[38:39], v[1:2], s[38:39]
	v_mul_f64 v[27:28], v[25:26], v[23:24]
	v_fma_f64 v[3:4], -v[3:4], v[27:28], v[25:26]
	v_div_fmas_f64 v[3:4], v[3:4], v[23:24], v[27:28]
	v_div_fixup_f64 v[1:2], v[3:4], v[1:2], s[38:39]
	ds_read2_b32 v[3:4], v8 offset0:7 offset1:10
	s_and_saveexec_b32 s2, s0
	s_cbranch_execz .LBB21_76
; %bb.75:                               ;   in Loop: Header=BB21_20 Depth=2
	s_waitcnt lgkmcnt(0)
	v_ashrrev_i32_e32 v24, 31, v4
	v_mov_b32_e32 v23, v4
	v_lshlrev_b64 v[23:24], 3, v[23:24]
	v_add_co_u32 v23, vcc_lo, s28, v23
	v_add_co_ci_u32_e64 v24, null, s29, v24, vcc_lo
	global_load_dwordx2 v[25:26], v[23:24], off
	s_waitcnt vmcnt(0)
	v_mul_f64 v[25:26], v[1:2], v[25:26]
	global_store_dwordx2 v[23:24], v[25:26], off
.LBB21_76:                              ;   in Loop: Header=BB21_20 Depth=2
	s_or_b32 exec_lo, exec_lo, s2
	s_waitcnt lgkmcnt(0)
	v_add_nc_u32_e32 v23, v3, v0
	s_mov_b32 s3, exec_lo
	v_cmpx_lt_i32_e64 v23, v4
	s_cbranch_execz .LBB21_17
; %bb.77:                               ;   in Loop: Header=BB21_20 Depth=2
	v_ashrrev_i32_e32 v24, 31, v23
	s_mov_b32 s4, 0
	v_lshlrev_b64 v[24:25], 3, v[23:24]
	v_add_co_u32 v3, vcc_lo, s26, v24
	v_add_co_ci_u32_e64 v7, null, s27, v25, vcc_lo
	.p2align	6
.LBB21_78:                              ;   Parent Loop BB21_7 Depth=1
                                        ;     Parent Loop BB21_20 Depth=2
                                        ; =>    This Inner Loop Header: Depth=3
	v_add_co_u32 v24, vcc_lo, s63, v3
	v_add_co_ci_u32_e64 v25, null, s64, v7, vcc_lo
	v_add_co_u32 v28, vcc_lo, s65, v3
	v_add_co_ci_u32_e64 v29, null, s66, v7, vcc_lo
	global_load_dwordx2 v[26:27], v[24:25], off
	v_add_nc_u32_e32 v23, s69, v23
	v_add_co_u32 v3, s2, v3, s75
	v_add_co_ci_u32_e64 v7, null, 0, v7, s2
	v_cmp_ge_i32_e32 vcc_lo, v23, v4
	s_or_b32 s4, vcc_lo, s4
	s_waitcnt vmcnt(0)
	v_mul_f64 v[26:27], v[1:2], v[26:27]
	global_store_dwordx2 v[24:25], v[26:27], off
	global_load_dwordx2 v[24:25], v[28:29], off
	s_waitcnt vmcnt(0)
	v_mul_f64 v[24:25], v[1:2], v[24:25]
	global_store_dwordx2 v[28:29], v[24:25], off
	s_andn2_b32 exec_lo, exec_lo, s4
	s_cbranch_execnz .LBB21_78
	s_branch .LBB21_17
.LBB21_79:                              ;   in Loop: Header=BB21_81 Depth=3
	s_or_b32 exec_lo, exec_lo, s4
	s_waitcnt_vscnt null, 0x0
	s_barrier
	buffer_gl0_inv
	ds_read_b32 v23, v8 offset:16
.LBB21_80:                              ;   in Loop: Header=BB21_81 Depth=3
	ds_read_b64 v[25:26], v8 offset:32
	s_waitcnt lgkmcnt(0)
	v_cmp_ge_i32_e32 vcc_lo, v23, v25
	v_cmp_gt_i32_e64 s2, s11, v26
	s_and_b32 s2, vcc_lo, s2
.LBB21_81:                              ;   Parent Loop BB21_7 Depth=1
                                        ;     Parent Loop BB21_20 Depth=2
                                        ; =>    This Loop Header: Depth=3
                                        ;         Child Loop BB21_88 Depth 4
                                        ;         Child Loop BB21_108 Depth 4
	;; [unrolled: 1-line block ×3, first 2 shown]
                                        ;           Child Loop BB21_160 Depth 5
	s_andn2_b32 vcc_lo, exec_lo, s2
	s_cbranch_vccnz .LBB21_66
; %bb.82:                               ;   in Loop: Header=BB21_81 Depth=3
	s_and_saveexec_b32 s4, s0
	s_cbranch_execz .LBB21_155
; %bb.83:                               ;   in Loop: Header=BB21_81 Depth=3
	v_cmp_gt_i32_e32 vcc_lo, v23, v25
	s_mov_b32 s2, 0
	s_cbranch_vccnz .LBB21_85
; %bb.84:                               ;   in Loop: Header=BB21_81 Depth=3
	v_ashrrev_i32_e32 v24, 31, v23
	v_mov_b32_e32 v2, v23
	s_mov_b32 s3, -1
	v_mov_b32_e32 v3, v24
	v_mov_b32_e32 v1, v23
	s_cbranch_execz .LBB21_86
	s_branch .LBB21_91
.LBB21_85:                              ;   in Loop: Header=BB21_81 Depth=3
	s_mov_b32 s3, 0
                                        ; implicit-def: $vgpr2_vgpr3
	v_mov_b32_e32 v1, v23
.LBB21_86:                              ;   in Loop: Header=BB21_81 Depth=3
	v_ashrrev_i32_e32 v24, 31, v23
	v_mov_b32_e32 v3, v23
	v_lshlrev_b64 v[1:2], 3, v[23:24]
	v_add_co_u32 v9, vcc_lo, s90, v1
	v_add_co_ci_u32_e64 v10, null, s91, v2, vcc_lo
	v_add_co_u32 v1, vcc_lo, s99, v1
	v_add_co_ci_u32_e64 v2, null, s104, v2, vcc_lo
	s_branch .LBB21_88
	.p2align	6
.LBB21_87:                              ;   in Loop: Header=BB21_88 Depth=4
	v_add_nc_u32_e32 v3, -1, v59
	v_add_co_u32 v1, vcc_lo, v1, -8
	v_add_co_ci_u32_e64 v2, null, -1, v2, vcc_lo
	v_cmp_le_i32_e64 s3, v3, v25
	s_mov_b32 s2, 0
	v_add_co_u32 v9, vcc_lo, v9, -8
	v_add_co_ci_u32_e64 v10, null, -1, v10, vcc_lo
	s_andn2_b32 vcc_lo, exec_lo, s3
	s_cbranch_vccz .LBB21_90
.LBB21_88:                              ;   Parent Loop BB21_7 Depth=1
                                        ;     Parent Loop BB21_20 Depth=2
                                        ;       Parent Loop BB21_81 Depth=3
                                        ; =>      This Inner Loop Header: Depth=4
	global_load_dwordx4 v[27:30], v[1:2], off
	global_load_dwordx2 v[15:16], v[9:10], off offset:-8
	v_mov_b32_e32 v59, v3
	s_waitcnt vmcnt(1)
	v_mul_f64 v[27:28], v[29:30], v[27:28]
	s_waitcnt vmcnt(0)
	v_mul_f64 v[15:16], v[15:16], v[15:16]
	v_mul_f64 v[27:28], v[5:6], |v[27:28]|
	v_cmp_le_f64_e64 s2, |v[15:16]|, v[27:28]
	s_and_b32 vcc_lo, exec_lo, s2
	s_cbranch_vccz .LBB21_87
; %bb.89:                               ;   in Loop: Header=BB21_81 Depth=3
	s_mov_b32 s2, -1
                                        ; implicit-def: $vgpr3
                                        ; implicit-def: $vgpr1_vgpr2
	v_add_co_u32 v9, vcc_lo, v9, -8
	v_add_co_ci_u32_e64 v10, null, -1, v10, vcc_lo
.LBB21_90:                              ;   in Loop: Header=BB21_81 Depth=3
	v_mov_b32_e32 v15, v23
	v_mov_b32_e32 v2, v23
	;; [unrolled: 1-line block ×5, first 2 shown]
	s_xor_b32 s3, s2, -1
	s_mov_b32 s2, -1
.LBB21_91:                              ;   in Loop: Header=BB21_81 Depth=3
	s_and_b32 vcc_lo, exec_lo, s3
	s_cbranch_vccnz .LBB21_120
; %bb.92:                               ;   in Loop: Header=BB21_81 Depth=3
	s_andn2_b32 vcc_lo, exec_lo, s2
	s_cbranch_vccnz .LBB21_94
.LBB21_93:                              ;   in Loop: Header=BB21_81 Depth=3
	v_mov_b32_e32 v2, v15
	v_mov_b32_e32 v7, v8
	;; [unrolled: 1-line block ×4, first 2 shown]
	ds_write2_b32 v8, v59, v23 offset0:5 offset1:7
	global_store_dwordx2 v[9:10], v[7:8], off
.LBB21_94:                              ;   in Loop: Header=BB21_81 Depth=3
	v_lshlrev_b64 v[27:28], 3, v[2:3]
	v_add_nc_u32_e32 v2, -1, v23
	s_mov_b32 s2, exec_lo
	v_add_co_u32 v24, vcc_lo, s28, v27
	v_add_co_ci_u32_e64 v25, null, s29, v28, vcc_lo
	global_load_dwordx2 v[35:36], v[24:25], off
	s_waitcnt vmcnt(0)
	ds_write_b64 v8, v[35:36]
	v_cmpx_ne_u32_e64 v1, v23
	s_xor_b32 s21, exec_lo, s2
	s_cbranch_execz .LBB21_152
; %bb.95:                               ;   in Loop: Header=BB21_81 Depth=3
	s_mov_b32 s2, exec_lo
	v_cmpx_ne_u32_e64 v1, v2
	s_xor_b32 s58, exec_lo, s2
	s_cbranch_execz .LBB21_124
; %bb.96:                               ;   in Loop: Header=BB21_81 Depth=3
	v_add_co_u32 v3, vcc_lo, s86, v27
	v_add_co_ci_u32_e64 v4, null, s87, v28, vcc_lo
	s_mov_b32 s59, exec_lo
	global_load_dwordx2 v[27:28], v[24:25], off offset:-8
	global_load_dwordx2 v[29:30], v[3:4], off offset:-8
	s_waitcnt vmcnt(1)
	v_add_f64 v[27:28], v[27:28], -v[35:36]
	s_waitcnt vmcnt(0)
	v_add_f64 v[31:32], v[29:30], v[29:30]
	v_div_scale_f64 v[33:34], null, v[31:32], v[31:32], v[27:28]
	v_div_scale_f64 v[41:42], vcc_lo, v[27:28], v[31:32], v[27:28]
	v_rcp_f64_e32 v[37:38], v[33:34]
	v_fma_f64 v[39:40], -v[33:34], v[37:38], 1.0
	v_fma_f64 v[37:38], v[37:38], v[39:40], v[37:38]
	v_fma_f64 v[39:40], -v[33:34], v[37:38], 1.0
	v_fma_f64 v[37:38], v[37:38], v[39:40], v[37:38]
	v_mul_f64 v[39:40], v[41:42], v[37:38]
	v_fma_f64 v[33:34], -v[33:34], v[39:40], v[41:42]
	v_div_fmas_f64 v[33:34], v[33:34], v[37:38], v[39:40]
	v_div_fixup_f64 v[27:28], v[33:34], v[31:32], v[27:28]
	v_fma_f64 v[31:32], v[27:28], v[27:28], 1.0
	v_cmp_gt_f64_e32 vcc_lo, 0x10000000, v[31:32]
	v_cndmask_b32_e64 v2, 0, 0x100, vcc_lo
	v_ldexp_f64 v[31:32], v[31:32], v2
	v_ashrrev_i32_e32 v2, 31, v1
	v_rsq_f64_e32 v[33:34], v[31:32]
	v_mul_f64 v[37:38], v[31:32], v[33:34]
	v_mul_f64 v[33:34], v[33:34], 0.5
	v_fma_f64 v[39:40], -v[33:34], v[37:38], 0.5
	v_fma_f64 v[41:42], v[37:38], v[39:40], v[37:38]
	v_fma_f64 v[43:44], v[33:34], v[39:40], v[33:34]
	v_lshlrev_b64 v[37:38], 3, v[1:2]
	v_cndmask_b32_e64 v2, 0, 0xffffff80, vcc_lo
	v_cmp_class_f64_e64 vcc_lo, v[31:32], 0x260
	v_fma_f64 v[33:34], -v[41:42], v[41:42], v[31:32]
	v_fma_f64 v[41:42], v[33:34], v[43:44], v[41:42]
	v_add_co_u32 v33, s2, s28, v37
	v_add_co_ci_u32_e64 v34, null, s29, v38, s2
	global_load_dwordx2 v[39:40], v[33:34], off
	v_fma_f64 v[45:46], -v[41:42], v[41:42], v[31:32]
	v_fma_f64 v[41:42], v[45:46], v[43:44], v[41:42]
	v_ldexp_f64 v[41:42], v[41:42], v2
	v_cndmask_b32_e32 v2, v42, v32, vcc_lo
	v_cndmask_b32_e32 v31, v41, v31, vcc_lo
	v_cmp_nle_f64_e32 vcc_lo, 0, v[27:28]
	v_and_b32_e32 v7, 0x7fffffff, v2
	v_or_b32_e32 v2, 0x80000000, v2
	v_cndmask_b32_e32 v32, v7, v2, vcc_lo
	v_add_nc_u32_e32 v2, 1, v26
	v_mov_b32_e32 v7, v8
	ds_write_b32 v8, v2 offset:36
	ds_write_b64 v8, v[7:8]
	v_add_f64 v[27:28], v[27:28], v[31:32]
	v_div_scale_f64 v[31:32], null, v[27:28], v[27:28], v[29:30]
	v_rcp_f64_e32 v[41:42], v[31:32]
	v_fma_f64 v[43:44], -v[31:32], v[41:42], 1.0
	v_fma_f64 v[41:42], v[41:42], v[43:44], v[41:42]
	v_fma_f64 v[43:44], -v[31:32], v[41:42], 1.0
	v_fma_f64 v[41:42], v[41:42], v[43:44], v[41:42]
	v_div_scale_f64 v[43:44], vcc_lo, v[29:30], v[27:28], v[29:30]
	v_mul_f64 v[45:46], v[43:44], v[41:42]
	v_fma_f64 v[31:32], -v[31:32], v[45:46], v[43:44]
	v_div_fmas_f64 v[31:32], v[31:32], v[41:42], v[45:46]
	s_waitcnt vmcnt(0)
	v_add_f64 v[41:42], v[39:40], -v[35:36]
	v_div_fixup_f64 v[27:28], v[31:32], v[27:28], v[29:30]
	v_mov_b32_e32 v29, 0
	v_mov_b32_e32 v30, 0
	v_add_f64 v[27:28], v[41:42], v[27:28]
	v_cmpx_lt_i32_e64 v1, v23
	s_cbranch_execz .LBB21_123
; %bb.97:                               ;   in Loop: Header=BB21_81 Depth=3
	v_add_co_u32 v29, vcc_lo, s86, v37
	v_add_co_ci_u32_e64 v30, null, s87, v38, vcc_lo
	v_mov_b32_e32 v41, 0
	v_mov_b32_e32 v31, 0
	;; [unrolled: 1-line block ×3, first 2 shown]
	global_load_dwordx2 v[35:36], v[29:30], off
	v_mov_b32_e32 v32, 0x3ff00000
	s_mov_b32 s2, exec_lo
	s_waitcnt vmcnt(0)
	v_cmpx_neq_f64_e32 0, v[35:36]
	s_cbranch_execz .LBB21_105
; %bb.98:                               ;   in Loop: Header=BB21_81 Depth=3
	v_mov_b32_e32 v31, 0
	v_mov_b32_e32 v41, 0
	;; [unrolled: 1-line block ×4, first 2 shown]
	s_mov_b32 s3, exec_lo
	v_cmpx_neq_f64_e32 0, v[27:28]
	s_cbranch_execz .LBB21_104
; %bb.99:                               ;   in Loop: Header=BB21_81 Depth=3
	v_cmp_ngt_f64_e64 s52, |v[35:36]|, |v[27:28]|
                                        ; implicit-def: $vgpr41_vgpr42
                                        ; implicit-def: $vgpr31_vgpr32
	s_and_saveexec_b32 s53, s52
	s_xor_b32 s52, exec_lo, s53
	s_cbranch_execz .LBB21_101
; %bb.100:                              ;   in Loop: Header=BB21_81 Depth=3
	v_div_scale_f64 v[29:30], null, v[27:28], v[27:28], -v[35:36]
	v_div_scale_f64 v[43:44], vcc_lo, -v[35:36], v[27:28], -v[35:36]
	v_rcp_f64_e32 v[31:32], v[29:30]
	v_fma_f64 v[41:42], -v[29:30], v[31:32], 1.0
	v_fma_f64 v[31:32], v[31:32], v[41:42], v[31:32]
	v_fma_f64 v[41:42], -v[29:30], v[31:32], 1.0
	v_fma_f64 v[31:32], v[31:32], v[41:42], v[31:32]
	v_mul_f64 v[41:42], v[43:44], v[31:32]
	v_fma_f64 v[29:30], -v[29:30], v[41:42], v[43:44]
	v_div_fmas_f64 v[29:30], v[29:30], v[31:32], v[41:42]
	v_div_fixup_f64 v[26:27], v[29:30], v[27:28], -v[35:36]
	v_fma_f64 v[28:29], v[26:27], v[26:27], 1.0
	v_cmp_gt_f64_e32 vcc_lo, 0x10000000, v[28:29]
	v_cndmask_b32_e64 v2, 0, 0x100, vcc_lo
	v_ldexp_f64 v[28:29], v[28:29], v2
	v_cndmask_b32_e64 v2, 0, 0xffffff80, vcc_lo
	v_rsq_f64_e32 v[30:31], v[28:29]
	v_cmp_class_f64_e64 vcc_lo, v[28:29], 0x260
	v_mul_f64 v[41:42], v[28:29], v[30:31]
	v_mul_f64 v[30:31], v[30:31], 0.5
	v_fma_f64 v[43:44], -v[30:31], v[41:42], 0.5
	v_fma_f64 v[41:42], v[41:42], v[43:44], v[41:42]
	v_fma_f64 v[30:31], v[30:31], v[43:44], v[30:31]
	v_fma_f64 v[43:44], -v[41:42], v[41:42], v[28:29]
	v_fma_f64 v[41:42], v[43:44], v[30:31], v[41:42]
	v_fma_f64 v[43:44], -v[41:42], v[41:42], v[28:29]
	v_fma_f64 v[30:31], v[43:44], v[30:31], v[41:42]
	v_ldexp_f64 v[30:31], v[30:31], v2
	v_cndmask_b32_e32 v29, v31, v29, vcc_lo
	v_cndmask_b32_e32 v28, v30, v28, vcc_lo
	v_div_scale_f64 v[30:31], null, v[28:29], v[28:29], 1.0
	v_rcp_f64_e32 v[41:42], v[30:31]
	v_fma_f64 v[43:44], -v[30:31], v[41:42], 1.0
	v_fma_f64 v[41:42], v[41:42], v[43:44], v[41:42]
	v_fma_f64 v[43:44], -v[30:31], v[41:42], 1.0
	v_fma_f64 v[41:42], v[41:42], v[43:44], v[41:42]
	v_div_scale_f64 v[43:44], vcc_lo, 1.0, v[28:29], 1.0
	v_mul_f64 v[45:46], v[43:44], v[41:42]
	v_fma_f64 v[30:31], -v[30:31], v[45:46], v[43:44]
	v_div_fmas_f64 v[30:31], v[30:31], v[41:42], v[45:46]
	v_div_fixup_f64 v[31:32], v[30:31], v[28:29], 1.0
	v_mul_f64 v[41:42], v[26:27], v[31:32]
                                        ; implicit-def: $vgpr27_vgpr28
.LBB21_101:                             ;   in Loop: Header=BB21_81 Depth=3
	s_andn2_saveexec_b32 s52, s52
	s_cbranch_execz .LBB21_103
; %bb.102:                              ;   in Loop: Header=BB21_81 Depth=3
	v_div_scale_f64 v[29:30], null, v[35:36], v[35:36], -v[27:28]
	v_div_scale_f64 v[43:44], vcc_lo, -v[27:28], v[35:36], -v[27:28]
	v_rcp_f64_e32 v[31:32], v[29:30]
	v_fma_f64 v[41:42], -v[29:30], v[31:32], 1.0
	v_fma_f64 v[31:32], v[31:32], v[41:42], v[31:32]
	v_fma_f64 v[41:42], -v[29:30], v[31:32], 1.0
	v_fma_f64 v[31:32], v[31:32], v[41:42], v[31:32]
	v_mul_f64 v[41:42], v[43:44], v[31:32]
	v_fma_f64 v[29:30], -v[29:30], v[41:42], v[43:44]
	v_div_fmas_f64 v[29:30], v[29:30], v[31:32], v[41:42]
	v_div_fixup_f64 v[26:27], v[29:30], v[35:36], -v[27:28]
	v_fma_f64 v[28:29], v[26:27], v[26:27], 1.0
	v_cmp_gt_f64_e32 vcc_lo, 0x10000000, v[28:29]
	v_cndmask_b32_e64 v2, 0, 0x100, vcc_lo
	v_ldexp_f64 v[28:29], v[28:29], v2
	v_cndmask_b32_e64 v2, 0, 0xffffff80, vcc_lo
	v_rsq_f64_e32 v[30:31], v[28:29]
	v_cmp_class_f64_e64 vcc_lo, v[28:29], 0x260
	v_mul_f64 v[41:42], v[28:29], v[30:31]
	v_mul_f64 v[30:31], v[30:31], 0.5
	v_fma_f64 v[43:44], -v[30:31], v[41:42], 0.5
	v_fma_f64 v[41:42], v[41:42], v[43:44], v[41:42]
	v_fma_f64 v[30:31], v[30:31], v[43:44], v[30:31]
	v_fma_f64 v[43:44], -v[41:42], v[41:42], v[28:29]
	v_fma_f64 v[41:42], v[43:44], v[30:31], v[41:42]
	v_fma_f64 v[43:44], -v[41:42], v[41:42], v[28:29]
	v_fma_f64 v[30:31], v[43:44], v[30:31], v[41:42]
	v_ldexp_f64 v[30:31], v[30:31], v2
	v_cndmask_b32_e32 v29, v31, v29, vcc_lo
	v_cndmask_b32_e32 v28, v30, v28, vcc_lo
	v_div_scale_f64 v[30:31], null, v[28:29], v[28:29], 1.0
	v_rcp_f64_e32 v[41:42], v[30:31]
	v_fma_f64 v[43:44], -v[30:31], v[41:42], 1.0
	v_fma_f64 v[41:42], v[41:42], v[43:44], v[41:42]
	v_fma_f64 v[43:44], -v[30:31], v[41:42], 1.0
	v_fma_f64 v[41:42], v[41:42], v[43:44], v[41:42]
	v_div_scale_f64 v[43:44], vcc_lo, 1.0, v[28:29], 1.0
	v_mul_f64 v[45:46], v[43:44], v[41:42]
	v_fma_f64 v[30:31], -v[30:31], v[45:46], v[43:44]
	v_div_fmas_f64 v[30:31], v[30:31], v[41:42], v[45:46]
	v_div_fixup_f64 v[41:42], v[30:31], v[28:29], 1.0
	v_mul_f64 v[31:32], v[26:27], v[41:42]
.LBB21_103:                             ;   in Loop: Header=BB21_81 Depth=3
	s_or_b32 exec_lo, exec_lo, s52
.LBB21_104:                             ;   in Loop: Header=BB21_81 Depth=3
	s_or_b32 exec_lo, exec_lo, s3
.LBB21_105:                             ;   in Loop: Header=BB21_81 Depth=3
	s_or_b32 exec_lo, exec_lo, s2
	global_load_dwordx2 v[26:27], v[33:34], off offset:8
	v_add_f64 v[28:29], v[31:32], v[31:32]
	s_mov_b32 s60, exec_lo
	s_waitcnt vmcnt(0)
	v_add_f64 v[26:27], v[26:27], -v[39:40]
	v_mul_f64 v[26:27], v[41:42], v[26:27]
	v_fma_f64 v[26:27], v[35:36], v[28:29], -v[26:27]
	v_mul_f64 v[29:30], v[26:27], -v[41:42]
	v_fma_f64 v[39:40], v[26:27], -v[41:42], v[39:40]
	v_fma_f64 v[27:28], v[31:32], v[26:27], -v[35:36]
	v_add_co_u32 v36, vcc_lo, s40, v37
	v_add_co_ci_u32_e64 v37, null, s41, v38, vcc_lo
	v_xor_b32_e32 v42, 0x80000000, v42
	v_add_nc_u32_e32 v35, 1, v1
	v_add_co_u32 v43, vcc_lo, v36, s42
	v_add_co_ci_u32_e64 v44, null, s43, v37, vcc_lo
	ds_write_b64 v8, v[29:30]
	global_store_dwordx2 v[33:34], v[39:40], off
	global_store_dwordx2 v[36:37], v[31:32], off
	global_store_dwordx2 v[43:44], v[41:42], off offset:-8
	v_cmpx_lt_i32_e64 v35, v23
	s_cbranch_execz .LBB21_122
; %bb.106:                              ;   in Loop: Header=BB21_81 Depth=3
	v_ashrrev_i32_e32 v36, 31, v35
	s_mov_b32 s61, 1
	s_mov_b32 vcc_hi, 0
	s_mov_b64 s[2:3], s[28:29]
	s_mov_b64 s[52:53], s[50:51]
	v_lshlrev_b64 v[33:34], 3, v[35:36]
	s_mov_b64 s[54:55], s[48:49]
	s_mov_b64 s[56:57], s[40:41]
	s_branch .LBB21_108
.LBB21_107:                             ;   in Loop: Header=BB21_108 Depth=4
	v_add_co_u32 v37, vcc_lo, s2, v33
	v_add_co_ci_u32_e64 v38, null, s3, v34, vcc_lo
	v_mul_f64 v[31:32], v[31:32], v[35:36]
	v_add_f64 v[35:36], v[39:40], v[39:40]
	v_xor_b32_e32 v42, 0x80000000, v44
	global_load_dwordx4 v[45:48], v[37:38], off
	v_mov_b32_e32 v41, v43
	s_add_i32 s61, s61, 1
	v_add_nc_u32_e32 v2, s61, v1
	s_waitcnt vmcnt(0)
	v_add_f64 v[26:27], v[45:46], -v[29:30]
	v_add_f64 v[28:29], v[47:48], -v[26:27]
	v_mul_f64 v[28:29], v[43:44], v[28:29]
	v_fma_f64 v[35:36], v[31:32], v[35:36], -v[28:29]
	v_mul_f64 v[29:30], v[35:36], -v[43:44]
	v_fma_f64 v[43:44], v[35:36], -v[43:44], v[26:27]
	v_fma_f64 v[27:28], v[39:40], v[35:36], -v[31:32]
	v_add_co_u32 v35, vcc_lo, s56, v33
	s_add_u32 s56, s56, 8
	v_add_co_ci_u32_e64 v36, null, s57, v34, vcc_lo
	v_add_co_u32 v45, vcc_lo, s52, v33
	s_addc_u32 s57, s57, 0
	s_add_u32 s54, s54, 8
	v_add_co_ci_u32_e64 v46, null, s53, v34, vcc_lo
	s_addc_u32 s55, s55, 0
	v_cmp_ge_i32_e32 vcc_lo, v2, v23
	v_mov_b32_e32 v31, v39
	s_add_u32 s52, s52, 8
	v_mov_b32_e32 v32, v40
	s_addc_u32 s53, s53, 0
	s_add_u32 s2, s2, 8
	s_addc_u32 s3, s3, 0
	s_or_b32 vcc_hi, vcc_lo, vcc_hi
	global_store_dwordx2 v[37:38], v[43:44], off
	global_store_dwordx2 v[35:36], v[39:40], off
	;; [unrolled: 1-line block ×3, first 2 shown]
	s_andn2_b32 exec_lo, exec_lo, vcc_hi
	s_cbranch_execz .LBB21_121
.LBB21_108:                             ;   Parent Loop BB21_7 Depth=1
                                        ;     Parent Loop BB21_20 Depth=2
                                        ;       Parent Loop BB21_81 Depth=3
                                        ; =>      This Inner Loop Header: Depth=4
	v_add_co_u32 v37, vcc_lo, s54, v33
	v_add_co_ci_u32_e64 v38, null, s55, v34, vcc_lo
	v_mov_b32_e32 v43, 0
	v_mov_b32_e32 v39, 0
	;; [unrolled: 1-line block ×3, first 2 shown]
	global_load_dwordx2 v[35:36], v[37:38], off offset:8
	v_mov_b32_e32 v40, 0x3ff00000
	s_mov_b32 s73, exec_lo
	s_waitcnt vmcnt(0)
	v_mul_f64 v[41:42], v[41:42], v[35:36]
	v_cmpx_neq_f64_e32 0, v[41:42]
	s_cbranch_execz .LBB21_118
; %bb.109:                              ;   in Loop: Header=BB21_108 Depth=4
	v_xor_b32_e32 v46, 0x80000000, v42
	v_mov_b32_e32 v45, v41
	s_mov_b32 s74, exec_lo
                                        ; implicit-def: $vgpr43_vgpr44
                                        ; implicit-def: $vgpr39_vgpr40
	v_cmpx_neq_f64_e32 0, v[27:28]
	s_xor_b32 s74, exec_lo, s74
	s_cbranch_execz .LBB21_115
; %bb.110:                              ;   in Loop: Header=BB21_108 Depth=4
	v_cmp_ngt_f64_e64 s76, |v[41:42]|, |v[27:28]|
                                        ; implicit-def: $vgpr43_vgpr44
                                        ; implicit-def: $vgpr39_vgpr40
	s_and_saveexec_b32 s77, s76
	s_xor_b32 s76, exec_lo, s77
	s_cbranch_execz .LBB21_112
; %bb.111:                              ;   in Loop: Header=BB21_108 Depth=4
	v_div_scale_f64 v[39:40], null, v[27:28], v[27:28], -v[41:42]
	v_div_scale_f64 v[47:48], vcc_lo, -v[41:42], v[27:28], -v[41:42]
	v_rcp_f64_e32 v[43:44], v[39:40]
	v_fma_f64 v[45:46], -v[39:40], v[43:44], 1.0
	v_fma_f64 v[43:44], v[43:44], v[45:46], v[43:44]
	v_fma_f64 v[45:46], -v[39:40], v[43:44], 1.0
	v_fma_f64 v[43:44], v[43:44], v[45:46], v[43:44]
	v_mul_f64 v[45:46], v[47:48], v[43:44]
	v_fma_f64 v[39:40], -v[39:40], v[45:46], v[47:48]
	v_div_fmas_f64 v[39:40], v[39:40], v[43:44], v[45:46]
	v_div_fixup_f64 v[43:44], v[39:40], v[27:28], -v[41:42]
	v_fma_f64 v[39:40], v[43:44], v[43:44], 1.0
	v_cmp_gt_f64_e32 vcc_lo, 0x10000000, v[39:40]
	v_cndmask_b32_e64 v2, 0, 0x100, vcc_lo
	v_ldexp_f64 v[39:40], v[39:40], v2
	v_cndmask_b32_e64 v2, 0, 0xffffff80, vcc_lo
	v_rsq_f64_e32 v[45:46], v[39:40]
	v_cmp_class_f64_e64 vcc_lo, v[39:40], 0x260
	v_mul_f64 v[47:48], v[39:40], v[45:46]
	v_mul_f64 v[45:46], v[45:46], 0.5
	v_fma_f64 v[49:50], -v[45:46], v[47:48], 0.5
	v_fma_f64 v[47:48], v[47:48], v[49:50], v[47:48]
	v_fma_f64 v[45:46], v[45:46], v[49:50], v[45:46]
	v_fma_f64 v[49:50], -v[47:48], v[47:48], v[39:40]
	v_fma_f64 v[47:48], v[49:50], v[45:46], v[47:48]
	v_fma_f64 v[49:50], -v[47:48], v[47:48], v[39:40]
	v_fma_f64 v[45:46], v[49:50], v[45:46], v[47:48]
	v_ldexp_f64 v[45:46], v[45:46], v2
	v_cndmask_b32_e32 v40, v46, v40, vcc_lo
	v_cndmask_b32_e32 v39, v45, v39, vcc_lo
	v_div_scale_f64 v[45:46], null, v[39:40], v[39:40], 1.0
	v_rcp_f64_e32 v[47:48], v[45:46]
	v_fma_f64 v[49:50], -v[45:46], v[47:48], 1.0
	v_fma_f64 v[47:48], v[47:48], v[49:50], v[47:48]
	v_fma_f64 v[49:50], -v[45:46], v[47:48], 1.0
	v_fma_f64 v[47:48], v[47:48], v[49:50], v[47:48]
	v_div_scale_f64 v[49:50], vcc_lo, 1.0, v[39:40], 1.0
	v_mul_f64 v[51:52], v[49:50], v[47:48]
	v_fma_f64 v[45:46], -v[45:46], v[51:52], v[49:50]
	v_div_fmas_f64 v[45:46], v[45:46], v[47:48], v[51:52]
	v_div_fixup_f64 v[39:40], v[45:46], v[39:40], 1.0
	v_mul_f64 v[43:44], v[43:44], v[39:40]
.LBB21_112:                             ;   in Loop: Header=BB21_108 Depth=4
	s_andn2_saveexec_b32 s76, s76
	s_cbranch_execz .LBB21_114
; %bb.113:                              ;   in Loop: Header=BB21_108 Depth=4
	v_div_scale_f64 v[39:40], null, v[41:42], v[41:42], -v[27:28]
	v_div_scale_f64 v[47:48], vcc_lo, -v[27:28], v[41:42], -v[27:28]
	v_rcp_f64_e32 v[43:44], v[39:40]
	v_fma_f64 v[45:46], -v[39:40], v[43:44], 1.0
	v_fma_f64 v[43:44], v[43:44], v[45:46], v[43:44]
	v_fma_f64 v[45:46], -v[39:40], v[43:44], 1.0
	v_fma_f64 v[43:44], v[43:44], v[45:46], v[43:44]
	v_mul_f64 v[45:46], v[47:48], v[43:44]
	v_fma_f64 v[39:40], -v[39:40], v[45:46], v[47:48]
	v_div_fmas_f64 v[39:40], v[39:40], v[43:44], v[45:46]
	v_div_fixup_f64 v[39:40], v[39:40], v[41:42], -v[27:28]
	v_fma_f64 v[43:44], v[39:40], v[39:40], 1.0
	v_cmp_gt_f64_e32 vcc_lo, 0x10000000, v[43:44]
	v_cndmask_b32_e64 v2, 0, 0x100, vcc_lo
	v_ldexp_f64 v[43:44], v[43:44], v2
	v_cndmask_b32_e64 v2, 0, 0xffffff80, vcc_lo
	v_rsq_f64_e32 v[45:46], v[43:44]
	v_cmp_class_f64_e64 vcc_lo, v[43:44], 0x260
	v_mul_f64 v[47:48], v[43:44], v[45:46]
	v_mul_f64 v[45:46], v[45:46], 0.5
	v_fma_f64 v[49:50], -v[45:46], v[47:48], 0.5
	v_fma_f64 v[47:48], v[47:48], v[49:50], v[47:48]
	v_fma_f64 v[45:46], v[45:46], v[49:50], v[45:46]
	v_fma_f64 v[49:50], -v[47:48], v[47:48], v[43:44]
	v_fma_f64 v[47:48], v[49:50], v[45:46], v[47:48]
	v_fma_f64 v[49:50], -v[47:48], v[47:48], v[43:44]
	v_fma_f64 v[45:46], v[49:50], v[45:46], v[47:48]
	v_ldexp_f64 v[45:46], v[45:46], v2
	v_cndmask_b32_e32 v44, v46, v44, vcc_lo
	v_cndmask_b32_e32 v43, v45, v43, vcc_lo
	v_div_scale_f64 v[45:46], null, v[43:44], v[43:44], 1.0
	v_rcp_f64_e32 v[47:48], v[45:46]
	v_fma_f64 v[49:50], -v[45:46], v[47:48], 1.0
	v_fma_f64 v[47:48], v[47:48], v[49:50], v[47:48]
	v_fma_f64 v[49:50], -v[45:46], v[47:48], 1.0
	v_fma_f64 v[47:48], v[47:48], v[49:50], v[47:48]
	v_div_scale_f64 v[49:50], vcc_lo, 1.0, v[43:44], 1.0
	v_mul_f64 v[51:52], v[49:50], v[47:48]
	v_fma_f64 v[45:46], -v[45:46], v[51:52], v[49:50]
	v_div_fmas_f64 v[45:46], v[45:46], v[47:48], v[51:52]
	v_div_fixup_f64 v[43:44], v[45:46], v[43:44], 1.0
	v_mul_f64 v[39:40], v[39:40], v[43:44]
.LBB21_114:                             ;   in Loop: Header=BB21_108 Depth=4
	s_or_b32 exec_lo, exec_lo, s76
	v_mul_f64 v[41:42], v[41:42], v[43:44]
	v_fma_f64 v[45:46], v[27:28], v[39:40], -v[41:42]
.LBB21_115:                             ;   in Loop: Header=BB21_108 Depth=4
	s_andn2_saveexec_b32 s74, s74
; %bb.116:                              ;   in Loop: Header=BB21_108 Depth=4
	v_mov_b32_e32 v39, 0
	v_mov_b32_e32 v43, 0
	;; [unrolled: 1-line block ×4, first 2 shown]
; %bb.117:                              ;   in Loop: Header=BB21_108 Depth=4
	s_or_b32 exec_lo, exec_lo, s74
	v_mov_b32_e32 v27, v45
	v_mov_b32_e32 v28, v46
.LBB21_118:                             ;   in Loop: Header=BB21_108 Depth=4
	s_or_b32 exec_lo, exec_lo, s73
	s_cmp_eq_u32 s61, 0
	s_cbranch_scc1 .LBB21_107
; %bb.119:                              ;   in Loop: Header=BB21_108 Depth=4
	global_store_dwordx2 v[37:38], v[27:28], off
	s_branch .LBB21_107
.LBB21_120:                             ;   in Loop: Header=BB21_81 Depth=3
	ds_write2_b32 v8, v1, v23 offset0:5 offset1:7
	s_cbranch_execz .LBB21_93
	s_branch .LBB21_94
.LBB21_121:                             ;   in Loop: Header=BB21_81 Depth=3
	s_or_b32 exec_lo, exec_lo, vcc_hi
	ds_write_b64 v8, v[29:30]
.LBB21_122:                             ;   in Loop: Header=BB21_81 Depth=3
	s_or_b32 exec_lo, exec_lo, s60
	global_load_dwordx2 v[35:36], v[24:25], off
.LBB21_123:                             ;   in Loop: Header=BB21_81 Depth=3
	s_or_b32 exec_lo, exec_lo, s59
	s_waitcnt vmcnt(0)
	v_add_f64 v[1:2], v[35:36], -v[29:30]
                                        ; implicit-def: $vgpr23
                                        ; implicit-def: $vgpr35_vgpr36
	global_store_dwordx2 v[24:25], v[1:2], off
	global_store_dwordx2 v[3:4], v[27:28], off offset:-8
                                        ; implicit-def: $vgpr24_vgpr25
                                        ; implicit-def: $vgpr27_vgpr28
                                        ; implicit-def: $vgpr1
.LBB21_124:                             ;   in Loop: Header=BB21_81 Depth=3
	s_andn2_saveexec_b32 s3, s58
	s_cbranch_execz .LBB21_161
; %bb.125:                              ;   in Loop: Header=BB21_81 Depth=3
	v_ashrrev_i32_e32 v2, 31, v1
                                        ; implicit-def: $vgpr39_vgpr40
	v_lshlrev_b64 v[29:30], 3, v[1:2]
	v_add_co_u32 v1, vcc_lo, s28, v29
	v_add_co_ci_u32_e64 v2, null, s29, v30, vcc_lo
	v_add_co_u32 v3, vcc_lo, s86, v29
	v_add_co_ci_u32_e64 v4, null, s87, v30, vcc_lo
	global_load_dwordx2 v[1:2], v[1:2], off
	global_load_dwordx2 v[37:38], v[3:4], off
	s_waitcnt vmcnt(1)
	v_add_f64 v[33:34], v[1:2], -v[35:36]
	s_waitcnt vmcnt(0)
	v_add_f64 v[31:32], v[37:38], v[37:38]
	v_cmp_ngt_f64_e64 s2, |v[33:34]|, |v[31:32]|
	s_and_saveexec_b32 s52, s2
	s_xor_b32 s2, exec_lo, s52
	s_cbranch_execz .LBB21_131
; %bb.126:                              ;   in Loop: Header=BB21_81 Depth=3
	v_cmp_nlt_f64_e64 s52, |v[33:34]|, |v[31:32]|
                                        ; implicit-def: $vgpr39_vgpr40
	s_and_saveexec_b32 s53, s52
	s_xor_b32 s52, exec_lo, s53
; %bb.127:                              ;   in Loop: Header=BB21_81 Depth=3
	v_mul_f64 v[39:40], |v[31:32]|, s[16:17]
; %bb.128:                              ;   in Loop: Header=BB21_81 Depth=3
	s_andn2_saveexec_b32 s52, s52
	s_cbranch_execz .LBB21_130
; %bb.129:                              ;   in Loop: Header=BB21_81 Depth=3
	v_and_b32_e32 v4, 0x7fffffff, v34
	v_mov_b32_e32 v3, v33
	v_and_b32_e32 v40, 0x7fffffff, v32
	v_mov_b32_e32 v39, v31
	v_div_scale_f64 v[41:42], null, v[39:40], v[39:40], v[3:4]
	v_div_scale_f64 v[3:4], vcc_lo, v[3:4], v[39:40], v[3:4]
	v_rcp_f64_e32 v[43:44], v[41:42]
	v_fma_f64 v[45:46], -v[41:42], v[43:44], 1.0
	v_fma_f64 v[43:44], v[43:44], v[45:46], v[43:44]
	v_fma_f64 v[45:46], -v[41:42], v[43:44], 1.0
	v_fma_f64 v[39:40], v[43:44], v[45:46], v[43:44]
	v_mul_f64 v[43:44], v[3:4], v[39:40]
	v_fma_f64 v[3:4], -v[41:42], v[43:44], v[3:4]
	v_div_fmas_f64 v[3:4], v[3:4], v[39:40], v[43:44]
	v_div_fixup_f64 v[3:4], v[3:4], |v[31:32]|, |v[33:34]|
	v_fma_f64 v[3:4], v[3:4], v[3:4], 1.0
	v_cmp_gt_f64_e32 vcc_lo, 0x10000000, v[3:4]
	v_cndmask_b32_e64 v7, 0, 0x100, vcc_lo
	v_ldexp_f64 v[3:4], v[3:4], v7
	v_cndmask_b32_e64 v7, 0, 0xffffff80, vcc_lo
	v_rsq_f64_e32 v[39:40], v[3:4]
	v_cmp_class_f64_e64 vcc_lo, v[3:4], 0x260
	v_mul_f64 v[41:42], v[3:4], v[39:40]
	v_mul_f64 v[39:40], v[39:40], 0.5
	v_fma_f64 v[43:44], -v[39:40], v[41:42], 0.5
	v_fma_f64 v[41:42], v[41:42], v[43:44], v[41:42]
	v_fma_f64 v[39:40], v[39:40], v[43:44], v[39:40]
	v_fma_f64 v[43:44], -v[41:42], v[41:42], v[3:4]
	v_fma_f64 v[41:42], v[43:44], v[39:40], v[41:42]
	v_fma_f64 v[43:44], -v[41:42], v[41:42], v[3:4]
	v_fma_f64 v[39:40], v[43:44], v[39:40], v[41:42]
	v_ldexp_f64 v[39:40], v[39:40], v7
	v_cndmask_b32_e32 v4, v40, v4, vcc_lo
	v_cndmask_b32_e32 v3, v39, v3, vcc_lo
	v_mul_f64 v[39:40], |v[31:32]|, v[3:4]
.LBB21_130:                             ;   in Loop: Header=BB21_81 Depth=3
	s_or_b32 exec_lo, exec_lo, s52
.LBB21_131:                             ;   in Loop: Header=BB21_81 Depth=3
	s_andn2_saveexec_b32 s2, s2
	s_cbranch_execz .LBB21_133
; %bb.132:                              ;   in Loop: Header=BB21_81 Depth=3
	v_and_b32_e32 v4, 0x7fffffff, v32
	v_mov_b32_e32 v3, v31
	v_and_b32_e32 v40, 0x7fffffff, v34
	v_mov_b32_e32 v39, v33
	v_div_scale_f64 v[41:42], null, v[39:40], v[39:40], v[3:4]
	v_div_scale_f64 v[3:4], vcc_lo, v[3:4], v[39:40], v[3:4]
	v_rcp_f64_e32 v[43:44], v[41:42]
	v_fma_f64 v[45:46], -v[41:42], v[43:44], 1.0
	v_fma_f64 v[43:44], v[43:44], v[45:46], v[43:44]
	v_fma_f64 v[45:46], -v[41:42], v[43:44], 1.0
	v_fma_f64 v[39:40], v[43:44], v[45:46], v[43:44]
	v_mul_f64 v[43:44], v[3:4], v[39:40]
	v_fma_f64 v[3:4], -v[41:42], v[43:44], v[3:4]
	v_div_fmas_f64 v[3:4], v[3:4], v[39:40], v[43:44]
	v_div_fixup_f64 v[3:4], v[3:4], |v[33:34]|, |v[31:32]|
	v_fma_f64 v[3:4], v[3:4], v[3:4], 1.0
	v_cmp_gt_f64_e32 vcc_lo, 0x10000000, v[3:4]
	v_cndmask_b32_e64 v7, 0, 0x100, vcc_lo
	v_ldexp_f64 v[3:4], v[3:4], v7
	v_cndmask_b32_e64 v7, 0, 0xffffff80, vcc_lo
	v_rsq_f64_e32 v[39:40], v[3:4]
	v_cmp_class_f64_e64 vcc_lo, v[3:4], 0x260
	v_mul_f64 v[41:42], v[3:4], v[39:40]
	v_mul_f64 v[39:40], v[39:40], 0.5
	v_fma_f64 v[43:44], -v[39:40], v[41:42], 0.5
	v_fma_f64 v[41:42], v[41:42], v[43:44], v[41:42]
	v_fma_f64 v[39:40], v[39:40], v[43:44], v[39:40]
	v_fma_f64 v[43:44], -v[41:42], v[41:42], v[3:4]
	v_fma_f64 v[41:42], v[43:44], v[39:40], v[41:42]
	v_fma_f64 v[43:44], -v[41:42], v[41:42], v[3:4]
	v_fma_f64 v[39:40], v[43:44], v[39:40], v[41:42]
	v_ldexp_f64 v[39:40], v[39:40], v7
	v_cndmask_b32_e32 v4, v40, v4, vcc_lo
	v_cndmask_b32_e32 v3, v39, v3, vcc_lo
	v_mul_f64 v[39:40], |v[33:34]|, v[3:4]
.LBB21_133:                             ;   in Loop: Header=BB21_81 Depth=3
	s_or_b32 exec_lo, exec_lo, s2
	v_cmp_gt_f64_e64 vcc_lo, |v[1:2]|, |v[35:36]|
	v_add_f64 v[43:44], v[35:36], v[1:2]
	s_mov_b32 s52, exec_lo
	v_cndmask_b32_e32 v42, v2, v36, vcc_lo
	v_cndmask_b32_e32 v41, v1, v35, vcc_lo
	;; [unrolled: 1-line block ×4, first 2 shown]
                                        ; implicit-def: $vgpr3_vgpr4
	v_cmpx_ngt_f64_e32 0, v[43:44]
	s_xor_b32 s52, exec_lo, s52
	s_cbranch_execz .LBB21_139
; %bb.134:                              ;   in Loop: Header=BB21_81 Depth=3
	s_mov_b32 s2, exec_lo
                                        ; implicit-def: $vgpr3_vgpr4
	v_cmpx_nlt_f64_e32 0, v[43:44]
	s_xor_b32 s2, exec_lo, s2
	s_cbranch_execz .LBB21_136
; %bb.135:                              ;   in Loop: Header=BB21_81 Depth=3
	v_mul_f64 v[1:2], v[39:40], 0.5
	v_mul_f64 v[3:4], v[39:40], -0.5
                                        ; implicit-def: $vgpr43_vgpr44
                                        ; implicit-def: $vgpr35_vgpr36
                                        ; implicit-def: $vgpr37_vgpr38
                                        ; implicit-def: $vgpr41_vgpr42
.LBB21_136:                             ;   in Loop: Header=BB21_81 Depth=3
	s_andn2_saveexec_b32 s53, s2
	s_cbranch_execz .LBB21_138
; %bb.137:                              ;   in Loop: Header=BB21_81 Depth=3
	v_add_f64 v[1:2], v[43:44], v[39:40]
	v_mul_f64 v[1:2], v[1:2], 0.5
	v_div_scale_f64 v[3:4], null, v[1:2], v[1:2], v[35:36]
	v_div_scale_f64 v[43:44], null, v[1:2], v[1:2], v[37:38]
	v_div_scale_f64 v[63:64], vcc_lo, v[35:36], v[1:2], v[35:36]
	v_rcp_f64_e32 v[45:46], v[3:4]
	v_rcp_f64_e32 v[47:48], v[43:44]
	v_fma_f64 v[49:50], -v[3:4], v[45:46], 1.0
	v_fma_f64 v[51:52], -v[43:44], v[47:48], 1.0
	v_fma_f64 v[45:46], v[45:46], v[49:50], v[45:46]
	v_fma_f64 v[47:48], v[47:48], v[51:52], v[47:48]
	v_fma_f64 v[49:50], -v[3:4], v[45:46], 1.0
	v_fma_f64 v[51:52], -v[43:44], v[47:48], 1.0
	v_fma_f64 v[45:46], v[45:46], v[49:50], v[45:46]
	v_div_scale_f64 v[49:50], s2, v[37:38], v[1:2], v[37:38]
	v_fma_f64 v[47:48], v[47:48], v[51:52], v[47:48]
	v_mul_f64 v[51:52], v[63:64], v[45:46]
	v_mul_f64 v[65:66], v[49:50], v[47:48]
	v_fma_f64 v[3:4], -v[3:4], v[51:52], v[63:64]
	v_fma_f64 v[43:44], -v[43:44], v[65:66], v[49:50]
	v_div_fmas_f64 v[3:4], v[3:4], v[45:46], v[51:52]
	s_mov_b32 vcc_lo, s2
	v_div_fmas_f64 v[43:44], v[43:44], v[47:48], v[65:66]
	v_div_fixup_f64 v[3:4], v[3:4], v[1:2], v[35:36]
	v_div_fixup_f64 v[43:44], v[43:44], v[1:2], v[37:38]
	v_mul_f64 v[35:36], v[37:38], v[43:44]
	v_fma_f64 v[3:4], v[41:42], v[3:4], -v[35:36]
.LBB21_138:                             ;   in Loop: Header=BB21_81 Depth=3
	s_or_b32 exec_lo, exec_lo, s53
                                        ; implicit-def: $vgpr43_vgpr44
                                        ; implicit-def: $vgpr35_vgpr36
                                        ; implicit-def: $vgpr37_vgpr38
                                        ; implicit-def: $vgpr41_vgpr42
.LBB21_139:                             ;   in Loop: Header=BB21_81 Depth=3
	s_or_saveexec_b32 s52, s52
	v_mov_b32_e32 v7, 1
	s_xor_b32 exec_lo, exec_lo, s52
	s_cbranch_execz .LBB21_141
; %bb.140:                              ;   in Loop: Header=BB21_81 Depth=3
	v_add_f64 v[1:2], v[43:44], -v[39:40]
	v_mov_b32_e32 v7, -1
	v_mul_f64 v[1:2], v[1:2], 0.5
	v_div_scale_f64 v[3:4], null, v[1:2], v[1:2], v[35:36]
	v_div_scale_f64 v[43:44], null, v[1:2], v[1:2], v[37:38]
	v_div_scale_f64 v[63:64], vcc_lo, v[35:36], v[1:2], v[35:36]
	v_rcp_f64_e32 v[45:46], v[3:4]
	v_rcp_f64_e32 v[47:48], v[43:44]
	v_fma_f64 v[49:50], -v[3:4], v[45:46], 1.0
	v_fma_f64 v[51:52], -v[43:44], v[47:48], 1.0
	v_fma_f64 v[45:46], v[45:46], v[49:50], v[45:46]
	v_fma_f64 v[47:48], v[47:48], v[51:52], v[47:48]
	v_fma_f64 v[49:50], -v[3:4], v[45:46], 1.0
	v_fma_f64 v[51:52], -v[43:44], v[47:48], 1.0
	v_fma_f64 v[45:46], v[45:46], v[49:50], v[45:46]
	v_div_scale_f64 v[49:50], s2, v[37:38], v[1:2], v[37:38]
	v_fma_f64 v[47:48], v[47:48], v[51:52], v[47:48]
	v_mul_f64 v[51:52], v[63:64], v[45:46]
	v_mul_f64 v[65:66], v[49:50], v[47:48]
	v_fma_f64 v[3:4], -v[3:4], v[51:52], v[63:64]
	v_fma_f64 v[43:44], -v[43:44], v[65:66], v[49:50]
	v_div_fmas_f64 v[3:4], v[3:4], v[45:46], v[51:52]
	s_mov_b32 vcc_lo, s2
	v_div_fmas_f64 v[43:44], v[43:44], v[47:48], v[65:66]
	v_div_fixup_f64 v[3:4], v[3:4], v[1:2], v[35:36]
	v_div_fixup_f64 v[43:44], v[43:44], v[1:2], v[37:38]
	v_mul_f64 v[35:36], v[37:38], v[43:44]
	v_fma_f64 v[3:4], v[41:42], v[3:4], -v[35:36]
.LBB21_141:                             ;   in Loop: Header=BB21_81 Depth=3
	s_or_b32 exec_lo, exec_lo, s52
	s_mov_b32 s2, exec_lo
                                        ; implicit-def: $vgpr35_vgpr36
	v_cmpx_le_f64_e32 0, v[33:34]
	s_xor_b32 s2, exec_lo, s2
; %bb.142:                              ;   in Loop: Header=BB21_81 Depth=3
	v_add_f64 v[35:36], v[33:34], v[39:40]
                                        ; implicit-def: $vgpr33_vgpr34
                                        ; implicit-def: $vgpr39_vgpr40
; %bb.143:                              ;   in Loop: Header=BB21_81 Depth=3
	s_or_saveexec_b32 s2, s2
	v_mov_b32_e32 v26, 1
	s_xor_b32 exec_lo, exec_lo, s2
; %bb.144:                              ;   in Loop: Header=BB21_81 Depth=3
	v_add_f64 v[35:36], v[33:34], -v[39:40]
	v_mov_b32_e32 v26, -1
; %bb.145:                              ;   in Loop: Header=BB21_81 Depth=3
	s_or_b32 exec_lo, exec_lo, s2
	v_cmp_ngt_f64_e64 s2, |v[35:36]|, |v[31:32]|
                                        ; implicit-def: $vgpr33_vgpr34
                                        ; implicit-def: $vgpr37_vgpr38
	s_and_saveexec_b32 s52, s2
	s_xor_b32 s2, exec_lo, s52
	s_cbranch_execz .LBB21_149
; %bb.146:                              ;   in Loop: Header=BB21_81 Depth=3
	v_mov_b32_e32 v33, 0
	v_mov_b32_e32 v37, 0
	;; [unrolled: 1-line block ×4, first 2 shown]
	s_mov_b32 s52, exec_lo
	v_cmpx_neq_f64_e32 0, v[31:32]
	s_cbranch_execz .LBB21_148
; %bb.147:                              ;   in Loop: Header=BB21_81 Depth=3
	v_div_scale_f64 v[33:34], null, v[31:32], v[31:32], -v[35:36]
	v_div_scale_f64 v[41:42], vcc_lo, -v[35:36], v[31:32], -v[35:36]
	v_rcp_f64_e32 v[37:38], v[33:34]
	v_fma_f64 v[39:40], -v[33:34], v[37:38], 1.0
	v_fma_f64 v[37:38], v[37:38], v[39:40], v[37:38]
	v_fma_f64 v[39:40], -v[33:34], v[37:38], 1.0
	v_fma_f64 v[37:38], v[37:38], v[39:40], v[37:38]
	v_mul_f64 v[39:40], v[41:42], v[37:38]
	v_fma_f64 v[33:34], -v[33:34], v[39:40], v[41:42]
	v_div_fmas_f64 v[33:34], v[33:34], v[37:38], v[39:40]
	v_div_fixup_f64 v[31:32], v[33:34], v[31:32], -v[35:36]
	v_fma_f64 v[33:34], v[31:32], v[31:32], 1.0
	v_cmp_gt_f64_e32 vcc_lo, 0x10000000, v[33:34]
	v_cndmask_b32_e64 v35, 0, 0x100, vcc_lo
	v_ldexp_f64 v[33:34], v[33:34], v35
	v_rsq_f64_e32 v[35:36], v[33:34]
	v_mul_f64 v[37:38], v[33:34], v[35:36]
	v_mul_f64 v[35:36], v[35:36], 0.5
	v_fma_f64 v[39:40], -v[35:36], v[37:38], 0.5
	v_fma_f64 v[37:38], v[37:38], v[39:40], v[37:38]
	v_fma_f64 v[35:36], v[35:36], v[39:40], v[35:36]
	v_fma_f64 v[39:40], -v[37:38], v[37:38], v[33:34]
	v_fma_f64 v[37:38], v[39:40], v[35:36], v[37:38]
	v_fma_f64 v[39:40], -v[37:38], v[37:38], v[33:34]
	v_fma_f64 v[35:36], v[39:40], v[35:36], v[37:38]
	v_cndmask_b32_e64 v37, 0, 0xffffff80, vcc_lo
	v_cmp_class_f64_e64 vcc_lo, v[33:34], 0x260
	v_ldexp_f64 v[35:36], v[35:36], v37
	v_cndmask_b32_e32 v34, v36, v34, vcc_lo
	v_cndmask_b32_e32 v33, v35, v33, vcc_lo
	v_div_scale_f64 v[35:36], null, v[33:34], v[33:34], 1.0
	v_rcp_f64_e32 v[37:38], v[35:36]
	v_fma_f64 v[39:40], -v[35:36], v[37:38], 1.0
	v_fma_f64 v[37:38], v[37:38], v[39:40], v[37:38]
	v_fma_f64 v[39:40], -v[35:36], v[37:38], 1.0
	v_fma_f64 v[37:38], v[37:38], v[39:40], v[37:38]
	v_div_scale_f64 v[39:40], vcc_lo, 1.0, v[33:34], 1.0
	v_mul_f64 v[41:42], v[39:40], v[37:38]
	v_fma_f64 v[35:36], -v[35:36], v[41:42], v[39:40]
	v_div_fmas_f64 v[35:36], v[35:36], v[37:38], v[41:42]
	v_div_fixup_f64 v[37:38], v[35:36], v[33:34], 1.0
	v_mul_f64 v[33:34], v[31:32], v[37:38]
.LBB21_148:                             ;   in Loop: Header=BB21_81 Depth=3
	s_or_b32 exec_lo, exec_lo, s52
                                        ; implicit-def: $vgpr35_vgpr36
                                        ; implicit-def: $vgpr31_vgpr32
.LBB21_149:                             ;   in Loop: Header=BB21_81 Depth=3
	s_andn2_saveexec_b32 s2, s2
	s_cbranch_execz .LBB21_151
; %bb.150:                              ;   in Loop: Header=BB21_81 Depth=3
	v_div_scale_f64 v[33:34], null, v[35:36], v[35:36], -v[31:32]
	v_div_scale_f64 v[41:42], vcc_lo, -v[31:32], v[35:36], -v[31:32]
	v_rcp_f64_e32 v[37:38], v[33:34]
	v_fma_f64 v[39:40], -v[33:34], v[37:38], 1.0
	v_fma_f64 v[37:38], v[37:38], v[39:40], v[37:38]
	v_fma_f64 v[39:40], -v[33:34], v[37:38], 1.0
	v_fma_f64 v[37:38], v[37:38], v[39:40], v[37:38]
	v_mul_f64 v[39:40], v[41:42], v[37:38]
	v_fma_f64 v[33:34], -v[33:34], v[39:40], v[41:42]
	v_div_fmas_f64 v[33:34], v[33:34], v[37:38], v[39:40]
	v_div_fixup_f64 v[31:32], v[33:34], v[35:36], -v[31:32]
	v_fma_f64 v[33:34], v[31:32], v[31:32], 1.0
	v_cmp_gt_f64_e32 vcc_lo, 0x10000000, v[33:34]
	v_cndmask_b32_e64 v35, 0, 0x100, vcc_lo
	v_ldexp_f64 v[33:34], v[33:34], v35
	v_rsq_f64_e32 v[35:36], v[33:34]
	v_mul_f64 v[37:38], v[33:34], v[35:36]
	v_mul_f64 v[35:36], v[35:36], 0.5
	v_fma_f64 v[39:40], -v[35:36], v[37:38], 0.5
	v_fma_f64 v[37:38], v[37:38], v[39:40], v[37:38]
	v_fma_f64 v[35:36], v[35:36], v[39:40], v[35:36]
	v_fma_f64 v[39:40], -v[37:38], v[37:38], v[33:34]
	v_fma_f64 v[37:38], v[39:40], v[35:36], v[37:38]
	v_fma_f64 v[39:40], -v[37:38], v[37:38], v[33:34]
	v_fma_f64 v[35:36], v[39:40], v[35:36], v[37:38]
	v_cndmask_b32_e64 v37, 0, 0xffffff80, vcc_lo
	v_cmp_class_f64_e64 vcc_lo, v[33:34], 0x260
	v_ldexp_f64 v[35:36], v[35:36], v37
	v_cndmask_b32_e32 v34, v36, v34, vcc_lo
	v_cndmask_b32_e32 v33, v35, v33, vcc_lo
	v_div_scale_f64 v[35:36], null, v[33:34], v[33:34], 1.0
	v_rcp_f64_e32 v[37:38], v[35:36]
	v_fma_f64 v[39:40], -v[35:36], v[37:38], 1.0
	v_fma_f64 v[37:38], v[37:38], v[39:40], v[37:38]
	v_fma_f64 v[39:40], -v[35:36], v[37:38], 1.0
	v_fma_f64 v[37:38], v[37:38], v[39:40], v[37:38]
	v_div_scale_f64 v[39:40], vcc_lo, 1.0, v[33:34], 1.0
	v_mul_f64 v[41:42], v[39:40], v[37:38]
	v_fma_f64 v[35:36], -v[35:36], v[41:42], v[39:40]
	v_div_fmas_f64 v[35:36], v[35:36], v[37:38], v[41:42]
	v_div_fixup_f64 v[33:34], v[35:36], v[33:34], 1.0
	v_mul_f64 v[37:38], v[31:32], v[33:34]
.LBB21_151:                             ;   in Loop: Header=BB21_81 Depth=3
	s_or_b32 exec_lo, exec_lo, s2
	v_xor_b32_e32 v31, 0x80000000, v34
	v_cmp_eq_u32_e32 vcc_lo, v7, v26
	v_add_co_u32 v29, s2, s40, v29
	v_add_co_ci_u32_e64 v30, null, s41, v30, s2
	v_cndmask_b32_e32 v32, v38, v31, vcc_lo
	v_cndmask_b32_e32 v31, v37, v33, vcc_lo
	;; [unrolled: 1-line block ×4, first 2 shown]
	v_add_co_u32 v35, vcc_lo, v29, s42
	v_add_nc_u32_e32 v23, -2, v23
	v_add_co_ci_u32_e64 v36, null, s43, v30, vcc_lo
	v_add_co_u32 v26, vcc_lo, s86, v27
	v_add_co_ci_u32_e64 v27, null, s87, v28, vcc_lo
	v_mov_b32_e32 v7, v8
	global_store_dwordx2 v[29:30], v[31:32], off
	global_store_dwordx2 v[35:36], v[33:34], off offset:-8
	global_store_dwordx4 v[24:25], v[1:4], off offset:-8
	global_store_dwordx2 v[26:27], v[7:8], off offset:-8
	ds_write_b32 v8, v23 offset:16
	s_or_b32 exec_lo, exec_lo, s3
                                        ; implicit-def: $vgpr2
.LBB21_152:                             ;   in Loop: Header=BB21_81 Depth=3
	s_andn2_saveexec_b32 s2, s21
.LBB21_153:                             ;   in Loop: Header=BB21_81 Depth=3
	ds_write_b32 v8, v2 offset:16
.LBB21_154:                             ;   in Loop: Header=BB21_81 Depth=3
	s_or_b32 exec_lo, exec_lo, s2
.LBB21_155:                             ;   in Loop: Header=BB21_81 Depth=3
	s_or_b32 exec_lo, exec_lo, s4
	s_waitcnt lgkmcnt(0)
	s_waitcnt_vscnt null, 0x0
	s_barrier
	buffer_gl0_inv
	ds_read_b64 v[1:2], v8 offset:16
	s_waitcnt lgkmcnt(0)
	v_readfirstlane_b32 s2, v2
	v_cmp_eq_u32_e32 vcc_lo, s2, v1
	v_mov_b32_e32 v23, s2
	s_cbranch_vccnz .LBB21_80
; %bb.156:                              ;   in Loop: Header=BB21_81 Depth=3
	s_and_saveexec_b32 s4, s1
	s_cbranch_execz .LBB21_79
; %bb.157:                              ;   in Loop: Header=BB21_81 Depth=3
	ds_read_b32 v1, v8 offset:28
	s_ashr_i32 s3, s2, 31
	s_mul_i32 s54, s2, s31
	s_lshl_b64 s[52:53], s[2:3], 3
	v_mov_b32_e32 v7, v0
	s_waitcnt lgkmcnt(0)
	v_readfirstlane_b32 s21, v1
	s_sub_i32 s21, s21, s2
	s_add_u32 s52, s40, s52
	s_addc_u32 s53, s41, s53
	s_ashr_i32 s55, s54, 31
	s_mul_hi_i32 s3, s21, s14
	s_lshl_b64 s[56:57], s[54:55], 3
	s_mul_i32 s2, s21, s14
	s_add_u32 s54, s88, s56
	s_addc_u32 s55, s89, s57
	s_cmp_gt_i32 s21, 0
	v_add_co_u32 v1, vcc_lo, v61, s56
	v_add_co_ci_u32_e64 v2, null, s57, v62, vcc_lo
	s_cselect_b32 s56, -1, 0
	s_lshl_b64 s[2:3], s[2:3], 3
	s_mov_b32 s57, 0
	s_add_u32 s58, s54, s2
	s_addc_u32 s59, s55, s3
	s_branch .LBB21_159
.LBB21_158:                             ;   in Loop: Header=BB21_159 Depth=4
	v_add_nc_u32_e32 v7, s69, v7
	v_add_co_u32 v23, vcc_lo, s58, v23
	v_add_co_ci_u32_e64 v24, null, s59, v24, vcc_lo
	v_cmp_le_i32_e32 vcc_lo, s24, v7
	v_add_co_u32 v1, s2, v1, s75
	v_add_co_ci_u32_e64 v2, null, 0, v2, s2
	s_or_b32 s57, vcc_lo, s57
	s_waitcnt vmcnt(0)
	global_store_dwordx2 v[23:24], v[3:4], off
	s_andn2_b32 exec_lo, exec_lo, s57
	s_cbranch_execz .LBB21_79
.LBB21_159:                             ;   Parent Loop BB21_7 Depth=1
                                        ;     Parent Loop BB21_20 Depth=2
                                        ;       Parent Loop BB21_81 Depth=3
                                        ; =>      This Loop Header: Depth=4
                                        ;           Child Loop BB21_160 Depth 5
	v_lshlrev_b64 v[23:24], 3, v[7:8]
	v_mov_b32_e32 v26, v2
	v_mov_b32_e32 v25, v1
	s_mov_b64 s[2:3], s[52:53]
	s_mov_b32 s60, s21
	v_add_co_u32 v3, vcc_lo, s54, v23
	v_add_co_ci_u32_e64 v4, null, s55, v24, vcc_lo
	s_andn2_b32 vcc_lo, exec_lo, s56
	global_load_dwordx2 v[3:4], v[3:4], off
	s_cbranch_vccnz .LBB21_158
	.p2align	6
.LBB21_160:                             ;   Parent Loop BB21_7 Depth=1
                                        ;     Parent Loop BB21_20 Depth=2
                                        ;       Parent Loop BB21_81 Depth=3
                                        ;         Parent Loop BB21_159 Depth=4
                                        ; =>        This Inner Loop Header: Depth=5
	v_add_co_u32 v27, vcc_lo, v25, s18
	v_add_co_ci_u32_e64 v28, null, s19, v26, vcc_lo
	s_add_u32 s76, s2, s25
	s_addc_u32 s77, s3, s96
	s_add_i32 s60, s60, -1
	global_load_dwordx2 v[29:30], v[27:28], off
	s_clause 0x1
	global_load_dwordx2 v[31:32], v8, s[76:77]
	global_load_dwordx2 v[33:34], v8, s[2:3]
	s_add_u32 s2, s2, 8
	s_addc_u32 s3, s3, 0
	s_cmp_eq_u32 s60, 0
	s_waitcnt vmcnt(1)
	v_mul_f64 v[35:36], v[31:32], v[29:30]
	v_mul_f64 v[31:32], v[3:4], v[31:32]
	s_waitcnt vmcnt(0)
	v_fma_f64 v[35:36], v[3:4], v[33:34], v[35:36]
	v_fma_f64 v[3:4], v[33:34], v[29:30], -v[31:32]
	global_store_dwordx2 v[25:26], v[35:36], off
	v_mov_b32_e32 v25, v27
	v_mov_b32_e32 v26, v28
	s_cbranch_scc0 .LBB21_160
	s_branch .LBB21_158
.LBB21_161:                             ;   in Loop: Header=BB21_81 Depth=3
	s_or_b32 exec_lo, exec_lo, s3
                                        ; implicit-def: $vgpr2
	s_andn2_saveexec_b32 s2, s21
	s_cbranch_execnz .LBB21_153
	s_branch .LBB21_154
.LBB21_162:                             ;   in Loop: Header=BB21_164 Depth=3
	s_or_b32 exec_lo, exec_lo, s21
	s_waitcnt_vscnt null, 0x0
	s_barrier
	buffer_gl0_inv
	ds_read_b32 v31, v8 offset:16
.LBB21_163:                             ;   in Loop: Header=BB21_164 Depth=3
	ds_read_b64 v[35:36], v8 offset:32
	s_waitcnt lgkmcnt(0)
	v_cmp_le_i32_e32 vcc_lo, v31, v35
	v_cmp_gt_i32_e64 s3, s11, v36
	s_and_b32 s3, vcc_lo, s3
	s_andn2_b32 vcc_lo, exec_lo, s3
	s_cbranch_vccnz .LBB21_63
.LBB21_164:                             ;   Parent Loop BB21_7 Depth=1
                                        ;     Parent Loop BB21_20 Depth=2
                                        ; =>    This Loop Header: Depth=3
                                        ;         Child Loop BB21_170 Depth 4
                                        ;         Child Loop BB21_190 Depth 4
	;; [unrolled: 1-line block ×3, first 2 shown]
                                        ;           Child Loop BB21_242 Depth 5
	s_and_saveexec_b32 s4, s0
	s_cbranch_execz .LBB21_237
; %bb.165:                              ;   in Loop: Header=BB21_164 Depth=3
	v_cmp_lt_i32_e32 vcc_lo, v31, v35
	s_mov_b32 s3, 0
	s_cbranch_vccnz .LBB21_167
; %bb.166:                              ;   in Loop: Header=BB21_164 Depth=3
	v_ashrrev_i32_e32 v32, 31, v31
	v_mov_b32_e32 v2, v31
	s_mov_b32 s21, -1
	v_mov_b32_e32 v3, v32
	v_mov_b32_e32 v1, v31
	s_cbranch_execz .LBB21_168
	s_branch .LBB21_173
.LBB21_167:                             ;   in Loop: Header=BB21_164 Depth=3
	s_mov_b32 s21, 0
                                        ; implicit-def: $vgpr2_vgpr3
	v_mov_b32_e32 v1, v31
.LBB21_168:                             ;   in Loop: Header=BB21_164 Depth=3
	v_ashrrev_i32_e32 v32, 31, v31
	v_mov_b32_e32 v7, v31
	v_lshlrev_b64 v[1:2], 3, v[31:32]
	v_add_co_u32 v3, vcc_lo, s90, v1
	v_add_co_ci_u32_e64 v4, null, s91, v2, vcc_lo
	v_add_co_u32 v1, vcc_lo, s94, v1
	v_add_co_ci_u32_e64 v2, null, s95, v2, vcc_lo
	s_branch .LBB21_170
	.p2align	6
.LBB21_169:                             ;   in Loop: Header=BB21_170 Depth=4
	v_add_nc_u32_e32 v7, 1, v24
	v_add_co_u32 v3, vcc_lo, v27, 8
	v_add_co_ci_u32_e64 v4, null, 0, v28, vcc_lo
	v_add_co_u32 v1, vcc_lo, v1, 8
	v_add_co_ci_u32_e64 v2, null, 0, v2, vcc_lo
	v_cmp_ge_i32_e64 s21, v7, v35
	s_mov_b32 s3, 0
	s_andn2_b32 vcc_lo, exec_lo, s21
	s_cbranch_vccz .LBB21_172
.LBB21_170:                             ;   Parent Loop BB21_7 Depth=1
                                        ;     Parent Loop BB21_20 Depth=2
                                        ;       Parent Loop BB21_164 Depth=3
                                        ; =>      This Inner Loop Header: Depth=4
	global_load_dwordx4 v[37:40], v[1:2], off
	v_mov_b32_e32 v28, v4
	v_mov_b32_e32 v27, v3
	global_load_dwordx2 v[3:4], v[3:4], off
	v_mov_b32_e32 v24, v7
	s_waitcnt vmcnt(1)
	v_mul_f64 v[29:30], v[37:38], v[39:40]
	s_waitcnt vmcnt(0)
	v_mul_f64 v[3:4], v[3:4], v[3:4]
	v_mul_f64 v[29:30], v[5:6], |v[29:30]|
	v_cmp_le_f64_e64 s3, |v[3:4]|, v[29:30]
	s_and_b32 vcc_lo, exec_lo, s3
	s_cbranch_vccz .LBB21_169
; %bb.171:                              ;   in Loop: Header=BB21_164 Depth=3
	s_mov_b32 s3, -1
                                        ; implicit-def: $vgpr7
                                        ; implicit-def: $vgpr3_vgpr4
                                        ; implicit-def: $vgpr1_vgpr2
.LBB21_172:                             ;   in Loop: Header=BB21_164 Depth=3
	v_mov_b32_e32 v29, v31
	v_mov_b32_e32 v2, v31
	v_mov_b32_e32 v30, v32
	v_mov_b32_e32 v1, v35
	v_mov_b32_e32 v3, v32
	s_xor_b32 s21, s3, -1
	s_mov_b32 s3, -1
.LBB21_173:                             ;   in Loop: Header=BB21_164 Depth=3
	s_and_b32 vcc_lo, exec_lo, s21
	s_cbranch_vccnz .LBB21_202
; %bb.174:                              ;   in Loop: Header=BB21_164 Depth=3
	s_andn2_b32 vcc_lo, exec_lo, s3
	s_cbranch_vccnz .LBB21_176
.LBB21_175:                             ;   in Loop: Header=BB21_164 Depth=3
	v_mov_b32_e32 v2, v29
	v_mov_b32_e32 v7, v8
	;; [unrolled: 1-line block ×4, first 2 shown]
	ds_write2_b32 v8, v24, v31 offset0:5 offset1:7
	global_store_dwordx2 v[27:28], v[7:8], off
.LBB21_176:                             ;   in Loop: Header=BB21_164 Depth=3
	v_lshlrev_b64 v[34:35], 3, v[2:3]
	v_add_nc_u32_e32 v2, 1, v31
	s_mov_b32 s3, exec_lo
	v_add_co_u32 v32, vcc_lo, s28, v34
	v_add_co_ci_u32_e64 v33, null, s29, v35, vcc_lo
	global_load_dwordx2 v[42:43], v[32:33], off
	s_waitcnt vmcnt(0)
	ds_write_b64 v8, v[42:43]
	v_cmpx_ne_u32_e64 v1, v31
	s_xor_b32 s21, exec_lo, s3
	s_cbranch_execz .LBB21_234
; %bb.177:                              ;   in Loop: Header=BB21_164 Depth=3
	s_mov_b32 s3, exec_lo
	v_cmpx_ne_u32_e64 v1, v2
	s_xor_b32 s60, exec_lo, s3
	s_cbranch_execz .LBB21_206
; %bb.178:                              ;   in Loop: Header=BB21_164 Depth=3
	v_add_co_u32 v3, vcc_lo, s86, v34
	v_add_co_ci_u32_e64 v4, null, s87, v35, vcc_lo
	global_load_dwordx2 v[34:35], v[32:33], off offset:8
	global_load_dwordx2 v[37:38], v[3:4], off
	s_waitcnt vmcnt(1)
	v_add_f64 v[34:35], v[34:35], -v[42:43]
	s_waitcnt vmcnt(0)
	v_add_f64 v[39:40], v[37:38], v[37:38]
	v_div_scale_f64 v[44:45], null, v[39:40], v[39:40], v[34:35]
	v_div_scale_f64 v[50:51], vcc_lo, v[34:35], v[39:40], v[34:35]
	v_rcp_f64_e32 v[46:47], v[44:45]
	v_fma_f64 v[48:49], -v[44:45], v[46:47], 1.0
	v_fma_f64 v[46:47], v[46:47], v[48:49], v[46:47]
	v_fma_f64 v[48:49], -v[44:45], v[46:47], 1.0
	v_fma_f64 v[46:47], v[46:47], v[48:49], v[46:47]
	v_mul_f64 v[48:49], v[50:51], v[46:47]
	v_fma_f64 v[44:45], -v[44:45], v[48:49], v[50:51]
	v_div_fmas_f64 v[44:45], v[44:45], v[46:47], v[48:49]
	v_div_fixup_f64 v[34:35], v[44:45], v[39:40], v[34:35]
	v_fma_f64 v[39:40], v[34:35], v[34:35], 1.0
	v_cmp_gt_f64_e32 vcc_lo, 0x10000000, v[39:40]
	v_cndmask_b32_e64 v2, 0, 0x100, vcc_lo
	v_ldexp_f64 v[48:49], v[39:40], v2
	v_ashrrev_i32_e32 v2, 31, v1
	v_rsq_f64_e32 v[39:40], v[48:49]
	v_mul_f64 v[44:45], v[48:49], v[39:40]
	v_mul_f64 v[39:40], v[39:40], 0.5
	v_fma_f64 v[46:47], -v[39:40], v[44:45], 0.5
	v_fma_f64 v[50:51], v[44:45], v[46:47], v[44:45]
	v_fma_f64 v[52:53], v[39:40], v[46:47], v[39:40]
	v_lshlrev_b64 v[44:45], 3, v[1:2]
	v_cndmask_b32_e64 v2, 0, 0xffffff80, vcc_lo
	v_cmp_class_f64_e64 vcc_lo, v[48:49], 0x260
	v_fma_f64 v[39:40], -v[50:51], v[50:51], v[48:49]
	v_fma_f64 v[50:51], v[39:40], v[52:53], v[50:51]
	v_add_co_u32 v40, s3, s28, v44
	v_add_co_ci_u32_e64 v41, null, s29, v45, s3
	s_mov_b32 s3, exec_lo
	global_load_dwordx2 v[46:47], v[40:41], off
	v_fma_f64 v[63:64], -v[50:51], v[50:51], v[48:49]
	v_fma_f64 v[50:51], v[63:64], v[52:53], v[50:51]
	v_ldexp_f64 v[50:51], v[50:51], v2
	v_cndmask_b32_e32 v2, v51, v49, vcc_lo
	v_cndmask_b32_e32 v48, v50, v48, vcc_lo
	v_cmp_nle_f64_e32 vcc_lo, 0, v[34:35]
	v_and_b32_e32 v7, 0x7fffffff, v2
	v_or_b32_e32 v2, 0x80000000, v2
	v_cndmask_b32_e32 v49, v7, v2, vcc_lo
	v_add_nc_u32_e32 v2, 1, v36
	v_mov_b32_e32 v7, v8
	ds_write_b32 v8, v2 offset:36
	ds_write_b64 v8, v[7:8]
	v_add_f64 v[34:35], v[34:35], v[48:49]
	v_div_scale_f64 v[48:49], null, v[34:35], v[34:35], v[37:38]
	v_rcp_f64_e32 v[50:51], v[48:49]
	v_fma_f64 v[52:53], -v[48:49], v[50:51], 1.0
	v_fma_f64 v[50:51], v[50:51], v[52:53], v[50:51]
	v_fma_f64 v[52:53], -v[48:49], v[50:51], 1.0
	v_fma_f64 v[50:51], v[50:51], v[52:53], v[50:51]
	v_div_scale_f64 v[52:53], vcc_lo, v[37:38], v[34:35], v[37:38]
	v_mul_f64 v[63:64], v[52:53], v[50:51]
	v_fma_f64 v[48:49], -v[48:49], v[63:64], v[52:53]
	v_div_fmas_f64 v[48:49], v[48:49], v[50:51], v[63:64]
	s_waitcnt vmcnt(0)
	v_add_f64 v[50:51], v[46:47], -v[42:43]
	v_div_fixup_f64 v[34:35], v[48:49], v[34:35], v[37:38]
	v_mov_b32_e32 v36, 0
	v_mov_b32_e32 v37, 0
	v_add_f64 v[34:35], v[50:51], v[34:35]
	v_cmpx_gt_i32_e64 v1, v31
	s_cbranch_execz .LBB21_205
; %bb.179:                              ;   in Loop: Header=BB21_164 Depth=3
	v_add_co_u32 v36, vcc_lo, s86, v44
	v_add_co_ci_u32_e64 v37, null, s87, v45, vcc_lo
	v_mov_b32_e32 v48, 0
	v_mov_b32_e32 v38, 0
	;; [unrolled: 1-line block ×3, first 2 shown]
	global_load_dwordx2 v[42:43], v[36:37], off offset:-8
	v_mov_b32_e32 v39, 0x3ff00000
	s_mov_b32 s52, exec_lo
	s_waitcnt vmcnt(0)
	v_cmpx_neq_f64_e32 0, v[42:43]
	s_cbranch_execz .LBB21_187
; %bb.180:                              ;   in Loop: Header=BB21_164 Depth=3
	v_mov_b32_e32 v38, 0
	v_mov_b32_e32 v48, 0
	;; [unrolled: 1-line block ×4, first 2 shown]
	s_mov_b32 s53, exec_lo
	v_cmpx_neq_f64_e32 0, v[34:35]
	s_cbranch_execz .LBB21_186
; %bb.181:                              ;   in Loop: Header=BB21_164 Depth=3
	v_cmp_ngt_f64_e64 s54, |v[42:43]|, |v[34:35]|
                                        ; implicit-def: $vgpr48_vgpr49
                                        ; implicit-def: $vgpr38_vgpr39
	s_and_saveexec_b32 s55, s54
	s_xor_b32 s54, exec_lo, s55
	s_cbranch_execz .LBB21_183
; %bb.182:                              ;   in Loop: Header=BB21_164 Depth=3
	v_div_scale_f64 v[36:37], null, v[34:35], v[34:35], -v[42:43]
	v_div_scale_f64 v[50:51], vcc_lo, -v[42:43], v[34:35], -v[42:43]
	v_rcp_f64_e32 v[38:39], v[36:37]
	v_fma_f64 v[48:49], -v[36:37], v[38:39], 1.0
	v_fma_f64 v[38:39], v[38:39], v[48:49], v[38:39]
	v_fma_f64 v[48:49], -v[36:37], v[38:39], 1.0
	v_fma_f64 v[38:39], v[38:39], v[48:49], v[38:39]
	v_mul_f64 v[48:49], v[50:51], v[38:39]
	v_fma_f64 v[36:37], -v[36:37], v[48:49], v[50:51]
	v_div_fmas_f64 v[36:37], v[36:37], v[38:39], v[48:49]
	v_div_fixup_f64 v[34:35], v[36:37], v[34:35], -v[42:43]
	v_fma_f64 v[36:37], v[34:35], v[34:35], 1.0
	v_cmp_gt_f64_e32 vcc_lo, 0x10000000, v[36:37]
	v_cndmask_b32_e64 v2, 0, 0x100, vcc_lo
	v_ldexp_f64 v[36:37], v[36:37], v2
	v_cndmask_b32_e64 v2, 0, 0xffffff80, vcc_lo
	v_rsq_f64_e32 v[38:39], v[36:37]
	v_cmp_class_f64_e64 vcc_lo, v[36:37], 0x260
	v_mul_f64 v[48:49], v[36:37], v[38:39]
	v_mul_f64 v[38:39], v[38:39], 0.5
	v_fma_f64 v[50:51], -v[38:39], v[48:49], 0.5
	v_fma_f64 v[48:49], v[48:49], v[50:51], v[48:49]
	v_fma_f64 v[38:39], v[38:39], v[50:51], v[38:39]
	v_fma_f64 v[50:51], -v[48:49], v[48:49], v[36:37]
	v_fma_f64 v[48:49], v[50:51], v[38:39], v[48:49]
	v_fma_f64 v[50:51], -v[48:49], v[48:49], v[36:37]
	v_fma_f64 v[38:39], v[50:51], v[38:39], v[48:49]
	v_ldexp_f64 v[38:39], v[38:39], v2
	v_cndmask_b32_e32 v37, v39, v37, vcc_lo
	v_cndmask_b32_e32 v36, v38, v36, vcc_lo
	v_div_scale_f64 v[38:39], null, v[36:37], v[36:37], 1.0
	v_rcp_f64_e32 v[48:49], v[38:39]
	v_fma_f64 v[50:51], -v[38:39], v[48:49], 1.0
	v_fma_f64 v[48:49], v[48:49], v[50:51], v[48:49]
	v_fma_f64 v[50:51], -v[38:39], v[48:49], 1.0
	v_fma_f64 v[48:49], v[48:49], v[50:51], v[48:49]
	v_div_scale_f64 v[50:51], vcc_lo, 1.0, v[36:37], 1.0
	v_mul_f64 v[52:53], v[50:51], v[48:49]
	v_fma_f64 v[38:39], -v[38:39], v[52:53], v[50:51]
	v_div_fmas_f64 v[38:39], v[38:39], v[48:49], v[52:53]
	v_div_fixup_f64 v[38:39], v[38:39], v[36:37], 1.0
	v_mul_f64 v[48:49], v[34:35], v[38:39]
                                        ; implicit-def: $vgpr34_vgpr35
.LBB21_183:                             ;   in Loop: Header=BB21_164 Depth=3
	s_andn2_saveexec_b32 s54, s54
	s_cbranch_execz .LBB21_185
; %bb.184:                              ;   in Loop: Header=BB21_164 Depth=3
	v_div_scale_f64 v[36:37], null, v[42:43], v[42:43], -v[34:35]
	v_div_scale_f64 v[50:51], vcc_lo, -v[34:35], v[42:43], -v[34:35]
	v_rcp_f64_e32 v[38:39], v[36:37]
	v_fma_f64 v[48:49], -v[36:37], v[38:39], 1.0
	v_fma_f64 v[38:39], v[38:39], v[48:49], v[38:39]
	v_fma_f64 v[48:49], -v[36:37], v[38:39], 1.0
	v_fma_f64 v[38:39], v[38:39], v[48:49], v[38:39]
	v_mul_f64 v[48:49], v[50:51], v[38:39]
	v_fma_f64 v[36:37], -v[36:37], v[48:49], v[50:51]
	v_div_fmas_f64 v[36:37], v[36:37], v[38:39], v[48:49]
	v_div_fixup_f64 v[34:35], v[36:37], v[42:43], -v[34:35]
	v_fma_f64 v[36:37], v[34:35], v[34:35], 1.0
	v_cmp_gt_f64_e32 vcc_lo, 0x10000000, v[36:37]
	v_cndmask_b32_e64 v2, 0, 0x100, vcc_lo
	v_ldexp_f64 v[36:37], v[36:37], v2
	v_cndmask_b32_e64 v2, 0, 0xffffff80, vcc_lo
	v_rsq_f64_e32 v[38:39], v[36:37]
	v_cmp_class_f64_e64 vcc_lo, v[36:37], 0x260
	v_mul_f64 v[48:49], v[36:37], v[38:39]
	v_mul_f64 v[38:39], v[38:39], 0.5
	v_fma_f64 v[50:51], -v[38:39], v[48:49], 0.5
	v_fma_f64 v[48:49], v[48:49], v[50:51], v[48:49]
	v_fma_f64 v[38:39], v[38:39], v[50:51], v[38:39]
	v_fma_f64 v[50:51], -v[48:49], v[48:49], v[36:37]
	v_fma_f64 v[48:49], v[50:51], v[38:39], v[48:49]
	v_fma_f64 v[50:51], -v[48:49], v[48:49], v[36:37]
	v_fma_f64 v[38:39], v[50:51], v[38:39], v[48:49]
	v_ldexp_f64 v[38:39], v[38:39], v2
	v_cndmask_b32_e32 v37, v39, v37, vcc_lo
	v_cndmask_b32_e32 v36, v38, v36, vcc_lo
	v_div_scale_f64 v[38:39], null, v[36:37], v[36:37], 1.0
	v_rcp_f64_e32 v[48:49], v[38:39]
	v_fma_f64 v[50:51], -v[38:39], v[48:49], 1.0
	v_fma_f64 v[48:49], v[48:49], v[50:51], v[48:49]
	v_fma_f64 v[50:51], -v[38:39], v[48:49], 1.0
	v_fma_f64 v[48:49], v[48:49], v[50:51], v[48:49]
	v_div_scale_f64 v[50:51], vcc_lo, 1.0, v[36:37], 1.0
	v_mul_f64 v[52:53], v[50:51], v[48:49]
	v_fma_f64 v[38:39], -v[38:39], v[52:53], v[50:51]
	v_div_fmas_f64 v[38:39], v[38:39], v[48:49], v[52:53]
	v_div_fixup_f64 v[48:49], v[38:39], v[36:37], 1.0
	v_mul_f64 v[38:39], v[34:35], v[48:49]
.LBB21_185:                             ;   in Loop: Header=BB21_164 Depth=3
	s_or_b32 exec_lo, exec_lo, s54
.LBB21_186:                             ;   in Loop: Header=BB21_164 Depth=3
	s_or_b32 exec_lo, exec_lo, s53
.LBB21_187:                             ;   in Loop: Header=BB21_164 Depth=3
	s_or_b32 exec_lo, exec_lo, s52
	global_load_dwordx2 v[34:35], v[40:41], off offset:-8
	v_add_f64 v[36:37], v[38:39], v[38:39]
	s_mov_b32 s61, exec_lo
	s_waitcnt vmcnt(0)
	v_add_f64 v[34:35], v[34:35], -v[46:47]
	v_mul_f64 v[34:35], v[48:49], v[34:35]
	v_fma_f64 v[34:35], v[42:43], v[36:37], -v[34:35]
	v_mul_f64 v[36:37], v[34:35], -v[48:49]
	v_fma_f64 v[46:47], v[34:35], -v[48:49], v[46:47]
	v_fma_f64 v[34:35], v[38:39], v[34:35], -v[42:43]
	v_add_co_u32 v43, vcc_lo, s40, v44
	v_add_co_ci_u32_e64 v44, null, s41, v45, vcc_lo
	v_add_nc_u32_e32 v42, -1, v1
	v_add_co_u32 v2, vcc_lo, v43, -8
	v_add_co_ci_u32_e64 v7, null, -1, v44, vcc_lo
	v_add_co_u32 v50, vcc_lo, v2, s42
	v_add_co_ci_u32_e64 v51, null, s43, v7, vcc_lo
	ds_write_b64 v8, v[36:37]
	global_store_dwordx2 v[40:41], v[46:47], off
	global_store_dwordx2 v[43:44], v[38:39], off offset:-8
	global_store_dwordx2 v[50:51], v[48:49], off offset:-8
	v_cmpx_gt_i32_e64 v42, v31
	s_cbranch_execz .LBB21_204
; %bb.188:                              ;   in Loop: Header=BB21_164 Depth=3
	v_ashrrev_i32_e32 v43, 31, v42
	v_xor_b32_e32 v49, 0x80000000, v49
	s_mov_b32 vcc_hi, -1
	s_mov_b32 s73, 0
	s_mov_b64 s[52:53], s[48:49]
	v_lshlrev_b64 v[40:41], 3, v[42:43]
	s_mov_b64 s[54:55], s[28:29]
	s_mov_b64 s[56:57], s[46:47]
	s_mov_b64 s[58:59], s[44:45]
	s_branch .LBB21_190
.LBB21_189:                             ;   in Loop: Header=BB21_190 Depth=4
	v_add_co_u32 v44, vcc_lo, s54, v40
	v_add_co_ci_u32_e64 v45, null, s55, v41, vcc_lo
	v_mul_f64 v[38:39], v[38:39], v[42:43]
	v_add_f64 v[42:43], v[50:51], v[50:51]
	v_add_co_u32 v52, vcc_lo, s56, v40
	global_load_dwordx4 v[63:66], v[44:45], off offset:-8
	v_add_co_ci_u32_e64 v53, null, s57, v41, vcc_lo
	v_xor_b32_e32 v49, 0x80000000, v47
	v_mov_b32_e32 v48, v46
	s_waitcnt vmcnt(0)
	v_add_f64 v[34:35], v[65:66], -v[36:37]
	v_add_f64 v[36:37], v[63:64], -v[34:35]
	v_mul_f64 v[36:37], v[46:47], v[36:37]
	v_fma_f64 v[42:43], v[38:39], v[42:43], -v[36:37]
	v_mul_f64 v[36:37], v[42:43], -v[46:47]
	v_fma_f64 v[63:64], v[42:43], -v[46:47], v[34:35]
	v_fma_f64 v[34:35], v[50:51], v[42:43], -v[38:39]
	v_add_co_u32 v42, vcc_lo, s58, v40
	s_add_u32 s58, s58, -8
	v_add_co_ci_u32_e64 v43, null, s59, v41, vcc_lo
	s_addc_u32 s59, s59, -1
	s_add_u32 s56, s56, -8
	s_addc_u32 s57, s57, -1
	s_add_i32 vcc_hi, vcc_hi, -1
	v_mov_b32_e32 v38, v50
	v_add_nc_u32_e32 v2, vcc_hi, v1
	s_add_u32 s54, s54, -8
	v_mov_b32_e32 v39, v51
	s_addc_u32 s55, s55, -1
	s_add_u32 s52, s52, -8
	v_cmp_le_i32_e32 vcc_lo, v2, v31
	s_addc_u32 s53, s53, -1
	global_store_dwordx2 v[44:45], v[63:64], off
	global_store_dwordx2 v[52:53], v[50:51], off
	;; [unrolled: 1-line block ×3, first 2 shown]
	s_or_b32 s73, vcc_lo, s73
	s_andn2_b32 exec_lo, exec_lo, s73
	s_cbranch_execz .LBB21_203
.LBB21_190:                             ;   Parent Loop BB21_7 Depth=1
                                        ;     Parent Loop BB21_20 Depth=2
                                        ;       Parent Loop BB21_164 Depth=3
                                        ; =>      This Inner Loop Header: Depth=4
	v_add_co_u32 v44, vcc_lo, s52, v40
	v_add_co_ci_u32_e64 v45, null, s53, v41, vcc_lo
	v_mov_b32_e32 v46, 0
	v_mov_b32_e32 v50, 0
	;; [unrolled: 1-line block ×3, first 2 shown]
	global_load_dwordx2 v[42:43], v[44:45], off
	v_mov_b32_e32 v51, 0x3ff00000
	s_mov_b32 s74, exec_lo
	s_waitcnt vmcnt(0)
	v_mul_f64 v[48:49], v[48:49], v[42:43]
	v_cmpx_neq_f64_e32 0, v[48:49]
	s_cbranch_execz .LBB21_200
; %bb.191:                              ;   in Loop: Header=BB21_190 Depth=4
	v_xor_b32_e32 v53, 0x80000000, v49
	v_mov_b32_e32 v52, v48
	s_mov_b32 s76, exec_lo
                                        ; implicit-def: $vgpr46_vgpr47
                                        ; implicit-def: $vgpr50_vgpr51
	v_cmpx_neq_f64_e32 0, v[34:35]
	s_xor_b32 s76, exec_lo, s76
	s_cbranch_execz .LBB21_197
; %bb.192:                              ;   in Loop: Header=BB21_190 Depth=4
	v_cmp_ngt_f64_e64 s77, |v[48:49]|, |v[34:35]|
                                        ; implicit-def: $vgpr46_vgpr47
                                        ; implicit-def: $vgpr50_vgpr51
	s_and_saveexec_b32 vcc_lo, s77
	s_xor_b32 s77, exec_lo, vcc_lo
	s_cbranch_execz .LBB21_194
; %bb.193:                              ;   in Loop: Header=BB21_190 Depth=4
	v_div_scale_f64 v[46:47], null, v[34:35], v[34:35], -v[48:49]
	v_div_scale_f64 v[63:64], vcc_lo, -v[48:49], v[34:35], -v[48:49]
	v_rcp_f64_e32 v[50:51], v[46:47]
	v_fma_f64 v[52:53], -v[46:47], v[50:51], 1.0
	v_fma_f64 v[50:51], v[50:51], v[52:53], v[50:51]
	v_fma_f64 v[52:53], -v[46:47], v[50:51], 1.0
	v_fma_f64 v[50:51], v[50:51], v[52:53], v[50:51]
	v_mul_f64 v[52:53], v[63:64], v[50:51]
	v_fma_f64 v[46:47], -v[46:47], v[52:53], v[63:64]
	v_div_fmas_f64 v[46:47], v[46:47], v[50:51], v[52:53]
	v_div_fixup_f64 v[46:47], v[46:47], v[34:35], -v[48:49]
	v_fma_f64 v[50:51], v[46:47], v[46:47], 1.0
	v_cmp_gt_f64_e32 vcc_lo, 0x10000000, v[50:51]
	v_cndmask_b32_e64 v2, 0, 0x100, vcc_lo
	v_ldexp_f64 v[50:51], v[50:51], v2
	v_cndmask_b32_e64 v2, 0, 0xffffff80, vcc_lo
	v_rsq_f64_e32 v[52:53], v[50:51]
	v_cmp_class_f64_e64 vcc_lo, v[50:51], 0x260
	v_mul_f64 v[63:64], v[50:51], v[52:53]
	v_mul_f64 v[52:53], v[52:53], 0.5
	v_fma_f64 v[65:66], -v[52:53], v[63:64], 0.5
	v_fma_f64 v[63:64], v[63:64], v[65:66], v[63:64]
	v_fma_f64 v[52:53], v[52:53], v[65:66], v[52:53]
	v_fma_f64 v[65:66], -v[63:64], v[63:64], v[50:51]
	v_fma_f64 v[63:64], v[65:66], v[52:53], v[63:64]
	v_fma_f64 v[65:66], -v[63:64], v[63:64], v[50:51]
	v_fma_f64 v[52:53], v[65:66], v[52:53], v[63:64]
	v_ldexp_f64 v[52:53], v[52:53], v2
	v_cndmask_b32_e32 v51, v53, v51, vcc_lo
	v_cndmask_b32_e32 v50, v52, v50, vcc_lo
	v_div_scale_f64 v[52:53], null, v[50:51], v[50:51], 1.0
	v_rcp_f64_e32 v[63:64], v[52:53]
	v_fma_f64 v[65:66], -v[52:53], v[63:64], 1.0
	v_fma_f64 v[63:64], v[63:64], v[65:66], v[63:64]
	v_fma_f64 v[65:66], -v[52:53], v[63:64], 1.0
	v_fma_f64 v[63:64], v[63:64], v[65:66], v[63:64]
	v_div_scale_f64 v[65:66], vcc_lo, 1.0, v[50:51], 1.0
	v_mul_f64 v[67:68], v[65:66], v[63:64]
	v_fma_f64 v[52:53], -v[52:53], v[67:68], v[65:66]
	v_div_fmas_f64 v[52:53], v[52:53], v[63:64], v[67:68]
	v_div_fixup_f64 v[50:51], v[52:53], v[50:51], 1.0
	v_mul_f64 v[46:47], v[46:47], v[50:51]
.LBB21_194:                             ;   in Loop: Header=BB21_190 Depth=4
	s_andn2_saveexec_b32 s77, s77
	s_cbranch_execz .LBB21_196
; %bb.195:                              ;   in Loop: Header=BB21_190 Depth=4
	v_div_scale_f64 v[46:47], null, v[48:49], v[48:49], -v[34:35]
	v_div_scale_f64 v[63:64], vcc_lo, -v[34:35], v[48:49], -v[34:35]
	v_rcp_f64_e32 v[50:51], v[46:47]
	v_fma_f64 v[52:53], -v[46:47], v[50:51], 1.0
	v_fma_f64 v[50:51], v[50:51], v[52:53], v[50:51]
	v_fma_f64 v[52:53], -v[46:47], v[50:51], 1.0
	v_fma_f64 v[50:51], v[50:51], v[52:53], v[50:51]
	v_mul_f64 v[52:53], v[63:64], v[50:51]
	v_fma_f64 v[46:47], -v[46:47], v[52:53], v[63:64]
	v_div_fmas_f64 v[46:47], v[46:47], v[50:51], v[52:53]
	v_div_fixup_f64 v[50:51], v[46:47], v[48:49], -v[34:35]
	v_fma_f64 v[46:47], v[50:51], v[50:51], 1.0
	v_cmp_gt_f64_e32 vcc_lo, 0x10000000, v[46:47]
	v_cndmask_b32_e64 v2, 0, 0x100, vcc_lo
	v_ldexp_f64 v[46:47], v[46:47], v2
	v_cndmask_b32_e64 v2, 0, 0xffffff80, vcc_lo
	v_rsq_f64_e32 v[52:53], v[46:47]
	v_cmp_class_f64_e64 vcc_lo, v[46:47], 0x260
	v_mul_f64 v[63:64], v[46:47], v[52:53]
	v_mul_f64 v[52:53], v[52:53], 0.5
	v_fma_f64 v[65:66], -v[52:53], v[63:64], 0.5
	v_fma_f64 v[63:64], v[63:64], v[65:66], v[63:64]
	v_fma_f64 v[52:53], v[52:53], v[65:66], v[52:53]
	v_fma_f64 v[65:66], -v[63:64], v[63:64], v[46:47]
	v_fma_f64 v[63:64], v[65:66], v[52:53], v[63:64]
	v_fma_f64 v[65:66], -v[63:64], v[63:64], v[46:47]
	v_fma_f64 v[52:53], v[65:66], v[52:53], v[63:64]
	v_ldexp_f64 v[52:53], v[52:53], v2
	v_cndmask_b32_e32 v47, v53, v47, vcc_lo
	v_cndmask_b32_e32 v46, v52, v46, vcc_lo
	v_div_scale_f64 v[52:53], null, v[46:47], v[46:47], 1.0
	v_rcp_f64_e32 v[63:64], v[52:53]
	v_fma_f64 v[65:66], -v[52:53], v[63:64], 1.0
	v_fma_f64 v[63:64], v[63:64], v[65:66], v[63:64]
	v_fma_f64 v[65:66], -v[52:53], v[63:64], 1.0
	v_fma_f64 v[63:64], v[63:64], v[65:66], v[63:64]
	v_div_scale_f64 v[65:66], vcc_lo, 1.0, v[46:47], 1.0
	v_mul_f64 v[67:68], v[65:66], v[63:64]
	v_fma_f64 v[52:53], -v[52:53], v[67:68], v[65:66]
	v_div_fmas_f64 v[52:53], v[52:53], v[63:64], v[67:68]
	v_div_fixup_f64 v[46:47], v[52:53], v[46:47], 1.0
	v_mul_f64 v[50:51], v[50:51], v[46:47]
.LBB21_196:                             ;   in Loop: Header=BB21_190 Depth=4
	s_or_b32 exec_lo, exec_lo, s77
	v_mul_f64 v[48:49], v[48:49], v[46:47]
	v_fma_f64 v[52:53], v[34:35], v[50:51], -v[48:49]
.LBB21_197:                             ;   in Loop: Header=BB21_190 Depth=4
	s_andn2_saveexec_b32 s76, s76
; %bb.198:                              ;   in Loop: Header=BB21_190 Depth=4
	v_mov_b32_e32 v50, 0
	v_mov_b32_e32 v46, 0
	;; [unrolled: 1-line block ×4, first 2 shown]
; %bb.199:                              ;   in Loop: Header=BB21_190 Depth=4
	s_or_b32 exec_lo, exec_lo, s76
	v_mov_b32_e32 v34, v52
	v_mov_b32_e32 v35, v53
.LBB21_200:                             ;   in Loop: Header=BB21_190 Depth=4
	s_or_b32 exec_lo, exec_lo, s74
	s_cmp_eq_u32 vcc_hi, 0
	s_cbranch_scc1 .LBB21_189
; %bb.201:                              ;   in Loop: Header=BB21_190 Depth=4
	global_store_dwordx2 v[44:45], v[34:35], off offset:8
	s_branch .LBB21_189
.LBB21_202:                             ;   in Loop: Header=BB21_164 Depth=3
	ds_write2_b32 v8, v1, v31 offset0:5 offset1:7
	s_cbranch_execz .LBB21_175
	s_branch .LBB21_176
.LBB21_203:                             ;   in Loop: Header=BB21_164 Depth=3
	s_or_b32 exec_lo, exec_lo, s73
	ds_write_b64 v8, v[36:37]
.LBB21_204:                             ;   in Loop: Header=BB21_164 Depth=3
	s_or_b32 exec_lo, exec_lo, s61
	global_load_dwordx2 v[42:43], v[32:33], off
.LBB21_205:                             ;   in Loop: Header=BB21_164 Depth=3
	s_or_b32 exec_lo, exec_lo, s3
	s_waitcnt vmcnt(0)
	v_add_f64 v[1:2], v[42:43], -v[36:37]
                                        ; implicit-def: $vgpr31
                                        ; implicit-def: $vgpr42_vgpr43
	global_store_dwordx2 v[32:33], v[1:2], off
	global_store_dwordx2 v[3:4], v[34:35], off
                                        ; implicit-def: $vgpr34_vgpr35
                                        ; implicit-def: $vgpr32_vgpr33
.LBB21_206:                             ;   in Loop: Header=BB21_164 Depth=3
	s_andn2_saveexec_b32 s52, s60
	s_cbranch_execz .LBB21_243
; %bb.207:                              ;   in Loop: Header=BB21_164 Depth=3
	v_add_co_u32 v36, vcc_lo, s86, v34
	v_add_co_ci_u32_e64 v37, null, s87, v35, vcc_lo
                                        ; implicit-def: $vgpr46_vgpr47
	global_load_dwordx2 v[1:2], v[32:33], off offset:8
	global_load_dwordx2 v[44:45], v[36:37], off
	s_waitcnt vmcnt(1)
	v_add_f64 v[40:41], v[42:43], -v[1:2]
	s_waitcnt vmcnt(0)
	v_add_f64 v[38:39], v[44:45], v[44:45]
	v_cmp_ngt_f64_e64 s3, |v[40:41]|, |v[38:39]|
	s_and_saveexec_b32 s53, s3
	s_xor_b32 s3, exec_lo, s53
	s_cbranch_execz .LBB21_213
; %bb.208:                              ;   in Loop: Header=BB21_164 Depth=3
	v_cmp_nlt_f64_e64 s53, |v[40:41]|, |v[38:39]|
                                        ; implicit-def: $vgpr46_vgpr47
	s_and_saveexec_b32 s54, s53
	s_xor_b32 s53, exec_lo, s54
; %bb.209:                              ;   in Loop: Header=BB21_164 Depth=3
	v_mul_f64 v[46:47], |v[38:39]|, s[16:17]
; %bb.210:                              ;   in Loop: Header=BB21_164 Depth=3
	s_andn2_saveexec_b32 s53, s53
	s_cbranch_execz .LBB21_212
; %bb.211:                              ;   in Loop: Header=BB21_164 Depth=3
	v_and_b32_e32 v4, 0x7fffffff, v41
	v_mov_b32_e32 v3, v40
	v_and_b32_e32 v47, 0x7fffffff, v39
	v_mov_b32_e32 v46, v38
	v_div_scale_f64 v[48:49], null, v[46:47], v[46:47], v[3:4]
	v_div_scale_f64 v[3:4], vcc_lo, v[3:4], v[46:47], v[3:4]
	v_rcp_f64_e32 v[50:51], v[48:49]
	v_fma_f64 v[52:53], -v[48:49], v[50:51], 1.0
	v_fma_f64 v[50:51], v[50:51], v[52:53], v[50:51]
	v_fma_f64 v[52:53], -v[48:49], v[50:51], 1.0
	v_fma_f64 v[46:47], v[50:51], v[52:53], v[50:51]
	v_mul_f64 v[50:51], v[3:4], v[46:47]
	v_fma_f64 v[3:4], -v[48:49], v[50:51], v[3:4]
	v_div_fmas_f64 v[3:4], v[3:4], v[46:47], v[50:51]
	v_div_fixup_f64 v[3:4], v[3:4], |v[38:39]|, |v[40:41]|
	v_fma_f64 v[3:4], v[3:4], v[3:4], 1.0
	v_cmp_gt_f64_e32 vcc_lo, 0x10000000, v[3:4]
	v_cndmask_b32_e64 v7, 0, 0x100, vcc_lo
	v_ldexp_f64 v[3:4], v[3:4], v7
	v_cndmask_b32_e64 v7, 0, 0xffffff80, vcc_lo
	v_rsq_f64_e32 v[46:47], v[3:4]
	v_cmp_class_f64_e64 vcc_lo, v[3:4], 0x260
	v_mul_f64 v[48:49], v[3:4], v[46:47]
	v_mul_f64 v[46:47], v[46:47], 0.5
	v_fma_f64 v[50:51], -v[46:47], v[48:49], 0.5
	v_fma_f64 v[48:49], v[48:49], v[50:51], v[48:49]
	v_fma_f64 v[46:47], v[46:47], v[50:51], v[46:47]
	v_fma_f64 v[50:51], -v[48:49], v[48:49], v[3:4]
	v_fma_f64 v[48:49], v[50:51], v[46:47], v[48:49]
	v_fma_f64 v[50:51], -v[48:49], v[48:49], v[3:4]
	v_fma_f64 v[46:47], v[50:51], v[46:47], v[48:49]
	v_ldexp_f64 v[46:47], v[46:47], v7
	v_cndmask_b32_e32 v4, v47, v4, vcc_lo
	v_cndmask_b32_e32 v3, v46, v3, vcc_lo
	v_mul_f64 v[46:47], |v[38:39]|, v[3:4]
.LBB21_212:                             ;   in Loop: Header=BB21_164 Depth=3
	s_or_b32 exec_lo, exec_lo, s53
.LBB21_213:                             ;   in Loop: Header=BB21_164 Depth=3
	s_andn2_saveexec_b32 s3, s3
	s_cbranch_execz .LBB21_215
; %bb.214:                              ;   in Loop: Header=BB21_164 Depth=3
	v_and_b32_e32 v4, 0x7fffffff, v39
	v_mov_b32_e32 v3, v38
	v_and_b32_e32 v47, 0x7fffffff, v41
	v_mov_b32_e32 v46, v40
	v_div_scale_f64 v[48:49], null, v[46:47], v[46:47], v[3:4]
	v_div_scale_f64 v[3:4], vcc_lo, v[3:4], v[46:47], v[3:4]
	v_rcp_f64_e32 v[50:51], v[48:49]
	v_fma_f64 v[52:53], -v[48:49], v[50:51], 1.0
	v_fma_f64 v[50:51], v[50:51], v[52:53], v[50:51]
	v_fma_f64 v[52:53], -v[48:49], v[50:51], 1.0
	v_fma_f64 v[46:47], v[50:51], v[52:53], v[50:51]
	v_mul_f64 v[50:51], v[3:4], v[46:47]
	v_fma_f64 v[3:4], -v[48:49], v[50:51], v[3:4]
	v_div_fmas_f64 v[3:4], v[3:4], v[46:47], v[50:51]
	v_div_fixup_f64 v[3:4], v[3:4], |v[40:41]|, |v[38:39]|
	v_fma_f64 v[3:4], v[3:4], v[3:4], 1.0
	v_cmp_gt_f64_e32 vcc_lo, 0x10000000, v[3:4]
	v_cndmask_b32_e64 v7, 0, 0x100, vcc_lo
	v_ldexp_f64 v[3:4], v[3:4], v7
	v_cndmask_b32_e64 v7, 0, 0xffffff80, vcc_lo
	v_rsq_f64_e32 v[46:47], v[3:4]
	v_cmp_class_f64_e64 vcc_lo, v[3:4], 0x260
	v_mul_f64 v[48:49], v[3:4], v[46:47]
	v_mul_f64 v[46:47], v[46:47], 0.5
	v_fma_f64 v[50:51], -v[46:47], v[48:49], 0.5
	v_fma_f64 v[48:49], v[48:49], v[50:51], v[48:49]
	v_fma_f64 v[46:47], v[46:47], v[50:51], v[46:47]
	v_fma_f64 v[50:51], -v[48:49], v[48:49], v[3:4]
	v_fma_f64 v[48:49], v[50:51], v[46:47], v[48:49]
	v_fma_f64 v[50:51], -v[48:49], v[48:49], v[3:4]
	v_fma_f64 v[46:47], v[50:51], v[46:47], v[48:49]
	v_ldexp_f64 v[46:47], v[46:47], v7
	v_cndmask_b32_e32 v4, v47, v4, vcc_lo
	v_cndmask_b32_e32 v3, v46, v3, vcc_lo
	v_mul_f64 v[46:47], |v[40:41]|, v[3:4]
.LBB21_215:                             ;   in Loop: Header=BB21_164 Depth=3
	s_or_b32 exec_lo, exec_lo, s3
	v_cmp_gt_f64_e64 vcc_lo, |v[42:43]|, |v[1:2]|
	v_add_f64 v[50:51], v[42:43], v[1:2]
	s_mov_b32 s53, exec_lo
	v_cndmask_b32_e32 v49, v43, v2, vcc_lo
	v_cndmask_b32_e32 v48, v42, v1, vcc_lo
	v_cndmask_b32_e32 v43, v2, v43, vcc_lo
	v_cndmask_b32_e32 v42, v1, v42, vcc_lo
                                        ; implicit-def: $vgpr3_vgpr4
	v_cmpx_ngt_f64_e32 0, v[50:51]
	s_xor_b32 s53, exec_lo, s53
	s_cbranch_execz .LBB21_221
; %bb.216:                              ;   in Loop: Header=BB21_164 Depth=3
	s_mov_b32 s3, exec_lo
                                        ; implicit-def: $vgpr3_vgpr4
	v_cmpx_nlt_f64_e32 0, v[50:51]
	s_xor_b32 s3, exec_lo, s3
	s_cbranch_execz .LBB21_218
; %bb.217:                              ;   in Loop: Header=BB21_164 Depth=3
	v_mul_f64 v[1:2], v[46:47], 0.5
	v_mul_f64 v[3:4], v[46:47], -0.5
                                        ; implicit-def: $vgpr50_vgpr51
                                        ; implicit-def: $vgpr42_vgpr43
                                        ; implicit-def: $vgpr44_vgpr45
                                        ; implicit-def: $vgpr48_vgpr49
.LBB21_218:                             ;   in Loop: Header=BB21_164 Depth=3
	s_andn2_saveexec_b32 s54, s3
	s_cbranch_execz .LBB21_220
; %bb.219:                              ;   in Loop: Header=BB21_164 Depth=3
	v_add_f64 v[1:2], v[50:51], v[46:47]
	v_mul_f64 v[1:2], v[1:2], 0.5
	v_div_scale_f64 v[3:4], null, v[1:2], v[1:2], v[42:43]
	v_div_scale_f64 v[50:51], null, v[1:2], v[1:2], v[44:45]
	v_div_scale_f64 v[69:70], vcc_lo, v[42:43], v[1:2], v[42:43]
	v_rcp_f64_e32 v[52:53], v[3:4]
	v_rcp_f64_e32 v[63:64], v[50:51]
	v_fma_f64 v[65:66], -v[3:4], v[52:53], 1.0
	v_fma_f64 v[67:68], -v[50:51], v[63:64], 1.0
	v_fma_f64 v[52:53], v[52:53], v[65:66], v[52:53]
	v_fma_f64 v[63:64], v[63:64], v[67:68], v[63:64]
	v_fma_f64 v[65:66], -v[3:4], v[52:53], 1.0
	v_fma_f64 v[67:68], -v[50:51], v[63:64], 1.0
	v_fma_f64 v[52:53], v[52:53], v[65:66], v[52:53]
	v_div_scale_f64 v[65:66], s3, v[44:45], v[1:2], v[44:45]
	v_fma_f64 v[63:64], v[63:64], v[67:68], v[63:64]
	v_mul_f64 v[67:68], v[69:70], v[52:53]
	v_mul_f64 v[71:72], v[65:66], v[63:64]
	v_fma_f64 v[3:4], -v[3:4], v[67:68], v[69:70]
	v_fma_f64 v[50:51], -v[50:51], v[71:72], v[65:66]
	v_div_fmas_f64 v[3:4], v[3:4], v[52:53], v[67:68]
	s_mov_b32 vcc_lo, s3
	v_div_fmas_f64 v[50:51], v[50:51], v[63:64], v[71:72]
	v_div_fixup_f64 v[3:4], v[3:4], v[1:2], v[42:43]
	v_div_fixup_f64 v[50:51], v[50:51], v[1:2], v[44:45]
	v_mul_f64 v[42:43], v[44:45], v[50:51]
	v_fma_f64 v[3:4], v[48:49], v[3:4], -v[42:43]
.LBB21_220:                             ;   in Loop: Header=BB21_164 Depth=3
	s_or_b32 exec_lo, exec_lo, s54
                                        ; implicit-def: $vgpr50_vgpr51
                                        ; implicit-def: $vgpr42_vgpr43
                                        ; implicit-def: $vgpr44_vgpr45
                                        ; implicit-def: $vgpr48_vgpr49
.LBB21_221:                             ;   in Loop: Header=BB21_164 Depth=3
	s_or_saveexec_b32 s53, s53
	v_mov_b32_e32 v7, 1
	s_xor_b32 exec_lo, exec_lo, s53
	s_cbranch_execz .LBB21_223
; %bb.222:                              ;   in Loop: Header=BB21_164 Depth=3
	v_add_f64 v[1:2], v[50:51], -v[46:47]
	v_mov_b32_e32 v7, -1
	v_mul_f64 v[1:2], v[1:2], 0.5
	v_div_scale_f64 v[3:4], null, v[1:2], v[1:2], v[42:43]
	v_div_scale_f64 v[50:51], null, v[1:2], v[1:2], v[44:45]
	v_div_scale_f64 v[69:70], vcc_lo, v[42:43], v[1:2], v[42:43]
	v_rcp_f64_e32 v[52:53], v[3:4]
	v_rcp_f64_e32 v[63:64], v[50:51]
	v_fma_f64 v[65:66], -v[3:4], v[52:53], 1.0
	v_fma_f64 v[67:68], -v[50:51], v[63:64], 1.0
	v_fma_f64 v[52:53], v[52:53], v[65:66], v[52:53]
	v_fma_f64 v[63:64], v[63:64], v[67:68], v[63:64]
	v_fma_f64 v[65:66], -v[3:4], v[52:53], 1.0
	v_fma_f64 v[67:68], -v[50:51], v[63:64], 1.0
	v_fma_f64 v[52:53], v[52:53], v[65:66], v[52:53]
	v_div_scale_f64 v[65:66], s3, v[44:45], v[1:2], v[44:45]
	v_fma_f64 v[63:64], v[63:64], v[67:68], v[63:64]
	v_mul_f64 v[67:68], v[69:70], v[52:53]
	v_mul_f64 v[71:72], v[65:66], v[63:64]
	v_fma_f64 v[3:4], -v[3:4], v[67:68], v[69:70]
	v_fma_f64 v[50:51], -v[50:51], v[71:72], v[65:66]
	v_div_fmas_f64 v[3:4], v[3:4], v[52:53], v[67:68]
	s_mov_b32 vcc_lo, s3
	v_div_fmas_f64 v[50:51], v[50:51], v[63:64], v[71:72]
	v_div_fixup_f64 v[3:4], v[3:4], v[1:2], v[42:43]
	v_div_fixup_f64 v[50:51], v[50:51], v[1:2], v[44:45]
	v_mul_f64 v[42:43], v[44:45], v[50:51]
	v_fma_f64 v[3:4], v[48:49], v[3:4], -v[42:43]
.LBB21_223:                             ;   in Loop: Header=BB21_164 Depth=3
	s_or_b32 exec_lo, exec_lo, s53
	s_mov_b32 s3, exec_lo
                                        ; implicit-def: $vgpr42_vgpr43
	v_cmpx_le_f64_e32 0, v[40:41]
	s_xor_b32 s3, exec_lo, s3
; %bb.224:                              ;   in Loop: Header=BB21_164 Depth=3
	v_add_f64 v[42:43], v[40:41], v[46:47]
                                        ; implicit-def: $vgpr40_vgpr41
                                        ; implicit-def: $vgpr46_vgpr47
; %bb.225:                              ;   in Loop: Header=BB21_164 Depth=3
	s_or_saveexec_b32 s3, s3
	v_mov_b32_e32 v48, 1
	s_xor_b32 exec_lo, exec_lo, s3
; %bb.226:                              ;   in Loop: Header=BB21_164 Depth=3
	v_add_f64 v[42:43], v[40:41], -v[46:47]
	v_mov_b32_e32 v48, -1
; %bb.227:                              ;   in Loop: Header=BB21_164 Depth=3
	s_or_b32 exec_lo, exec_lo, s3
	v_cmp_ngt_f64_e64 s3, |v[42:43]|, |v[38:39]|
                                        ; implicit-def: $vgpr44_vgpr45
                                        ; implicit-def: $vgpr40_vgpr41
	s_and_saveexec_b32 s53, s3
	s_xor_b32 s3, exec_lo, s53
	s_cbranch_execz .LBB21_231
; %bb.228:                              ;   in Loop: Header=BB21_164 Depth=3
	v_mov_b32_e32 v40, 0
	v_mov_b32_e32 v44, 0
	;; [unrolled: 1-line block ×4, first 2 shown]
	s_mov_b32 s53, exec_lo
	v_cmpx_neq_f64_e32 0, v[38:39]
	s_cbranch_execz .LBB21_230
; %bb.229:                              ;   in Loop: Header=BB21_164 Depth=3
	v_div_scale_f64 v[40:41], null, v[38:39], v[38:39], -v[42:43]
	v_div_scale_f64 v[49:50], vcc_lo, -v[42:43], v[38:39], -v[42:43]
	v_rcp_f64_e32 v[44:45], v[40:41]
	v_fma_f64 v[46:47], -v[40:41], v[44:45], 1.0
	v_fma_f64 v[44:45], v[44:45], v[46:47], v[44:45]
	v_fma_f64 v[46:47], -v[40:41], v[44:45], 1.0
	v_fma_f64 v[44:45], v[44:45], v[46:47], v[44:45]
	v_mul_f64 v[46:47], v[49:50], v[44:45]
	v_fma_f64 v[40:41], -v[40:41], v[46:47], v[49:50]
	v_div_fmas_f64 v[40:41], v[40:41], v[44:45], v[46:47]
	v_div_fixup_f64 v[38:39], v[40:41], v[38:39], -v[42:43]
	v_fma_f64 v[40:41], v[38:39], v[38:39], 1.0
	v_cmp_gt_f64_e32 vcc_lo, 0x10000000, v[40:41]
	v_cndmask_b32_e64 v42, 0, 0x100, vcc_lo
	v_ldexp_f64 v[40:41], v[40:41], v42
	v_rsq_f64_e32 v[42:43], v[40:41]
	v_mul_f64 v[44:45], v[40:41], v[42:43]
	v_mul_f64 v[42:43], v[42:43], 0.5
	v_fma_f64 v[46:47], -v[42:43], v[44:45], 0.5
	v_fma_f64 v[44:45], v[44:45], v[46:47], v[44:45]
	v_fma_f64 v[42:43], v[42:43], v[46:47], v[42:43]
	v_fma_f64 v[46:47], -v[44:45], v[44:45], v[40:41]
	v_fma_f64 v[44:45], v[46:47], v[42:43], v[44:45]
	v_fma_f64 v[46:47], -v[44:45], v[44:45], v[40:41]
	v_fma_f64 v[42:43], v[46:47], v[42:43], v[44:45]
	v_cndmask_b32_e64 v44, 0, 0xffffff80, vcc_lo
	v_cmp_class_f64_e64 vcc_lo, v[40:41], 0x260
	v_ldexp_f64 v[42:43], v[42:43], v44
	v_cndmask_b32_e32 v41, v43, v41, vcc_lo
	v_cndmask_b32_e32 v40, v42, v40, vcc_lo
	v_div_scale_f64 v[42:43], null, v[40:41], v[40:41], 1.0
	v_rcp_f64_e32 v[44:45], v[42:43]
	v_fma_f64 v[46:47], -v[42:43], v[44:45], 1.0
	v_fma_f64 v[44:45], v[44:45], v[46:47], v[44:45]
	v_fma_f64 v[46:47], -v[42:43], v[44:45], 1.0
	v_fma_f64 v[44:45], v[44:45], v[46:47], v[44:45]
	v_div_scale_f64 v[46:47], vcc_lo, 1.0, v[40:41], 1.0
	v_mul_f64 v[49:50], v[46:47], v[44:45]
	v_fma_f64 v[42:43], -v[42:43], v[49:50], v[46:47]
	v_div_fmas_f64 v[42:43], v[42:43], v[44:45], v[49:50]
	v_div_fixup_f64 v[44:45], v[42:43], v[40:41], 1.0
	v_mul_f64 v[40:41], v[38:39], v[44:45]
.LBB21_230:                             ;   in Loop: Header=BB21_164 Depth=3
	s_or_b32 exec_lo, exec_lo, s53
                                        ; implicit-def: $vgpr42_vgpr43
                                        ; implicit-def: $vgpr38_vgpr39
.LBB21_231:                             ;   in Loop: Header=BB21_164 Depth=3
	s_andn2_saveexec_b32 s3, s3
	s_cbranch_execz .LBB21_233
; %bb.232:                              ;   in Loop: Header=BB21_164 Depth=3
	v_div_scale_f64 v[40:41], null, v[42:43], v[42:43], -v[38:39]
	v_div_scale_f64 v[49:50], vcc_lo, -v[38:39], v[42:43], -v[38:39]
	v_rcp_f64_e32 v[44:45], v[40:41]
	v_fma_f64 v[46:47], -v[40:41], v[44:45], 1.0
	v_fma_f64 v[44:45], v[44:45], v[46:47], v[44:45]
	v_fma_f64 v[46:47], -v[40:41], v[44:45], 1.0
	v_fma_f64 v[44:45], v[44:45], v[46:47], v[44:45]
	v_mul_f64 v[46:47], v[49:50], v[44:45]
	v_fma_f64 v[40:41], -v[40:41], v[46:47], v[49:50]
	v_div_fmas_f64 v[40:41], v[40:41], v[44:45], v[46:47]
	v_div_fixup_f64 v[38:39], v[40:41], v[42:43], -v[38:39]
	v_fma_f64 v[40:41], v[38:39], v[38:39], 1.0
	v_cmp_gt_f64_e32 vcc_lo, 0x10000000, v[40:41]
	v_cndmask_b32_e64 v42, 0, 0x100, vcc_lo
	v_ldexp_f64 v[40:41], v[40:41], v42
	v_rsq_f64_e32 v[42:43], v[40:41]
	v_mul_f64 v[44:45], v[40:41], v[42:43]
	v_mul_f64 v[42:43], v[42:43], 0.5
	v_fma_f64 v[46:47], -v[42:43], v[44:45], 0.5
	v_fma_f64 v[44:45], v[44:45], v[46:47], v[44:45]
	v_fma_f64 v[42:43], v[42:43], v[46:47], v[42:43]
	v_fma_f64 v[46:47], -v[44:45], v[44:45], v[40:41]
	v_fma_f64 v[44:45], v[46:47], v[42:43], v[44:45]
	v_fma_f64 v[46:47], -v[44:45], v[44:45], v[40:41]
	v_fma_f64 v[42:43], v[46:47], v[42:43], v[44:45]
	v_cndmask_b32_e64 v44, 0, 0xffffff80, vcc_lo
	v_cmp_class_f64_e64 vcc_lo, v[40:41], 0x260
	v_ldexp_f64 v[42:43], v[42:43], v44
	v_cndmask_b32_e32 v41, v43, v41, vcc_lo
	v_cndmask_b32_e32 v40, v42, v40, vcc_lo
	v_div_scale_f64 v[42:43], null, v[40:41], v[40:41], 1.0
	v_rcp_f64_e32 v[44:45], v[42:43]
	v_fma_f64 v[46:47], -v[42:43], v[44:45], 1.0
	v_fma_f64 v[44:45], v[44:45], v[46:47], v[44:45]
	v_fma_f64 v[46:47], -v[42:43], v[44:45], 1.0
	v_fma_f64 v[44:45], v[44:45], v[46:47], v[44:45]
	v_div_scale_f64 v[46:47], vcc_lo, 1.0, v[40:41], 1.0
	v_mul_f64 v[49:50], v[46:47], v[44:45]
	v_fma_f64 v[42:43], -v[42:43], v[49:50], v[46:47]
	v_div_fmas_f64 v[42:43], v[42:43], v[44:45], v[49:50]
	v_div_fixup_f64 v[40:41], v[42:43], v[40:41], 1.0
	v_mul_f64 v[44:45], v[38:39], v[40:41]
.LBB21_233:                             ;   in Loop: Header=BB21_164 Depth=3
	s_or_b32 exec_lo, exec_lo, s3
	v_cmp_eq_u32_e32 vcc_lo, v7, v48
	v_xor_b32_e32 v7, 0x80000000, v41
	v_add_co_u32 v34, s3, s40, v34
	v_add_co_ci_u32_e64 v35, null, s41, v35, s3
	v_cndmask_b32_e32 v39, v41, v45, vcc_lo
	v_cndmask_b32_e32 v38, v40, v44, vcc_lo
	;; [unrolled: 1-line block ×4, first 2 shown]
	v_add_co_u32 v42, vcc_lo, v34, s42
	v_add_nc_u32_e32 v31, 2, v31
	v_add_co_ci_u32_e64 v43, null, s43, v35, vcc_lo
	v_mov_b32_e32 v7, v8
	global_store_dwordx2 v[34:35], v[40:41], off
	global_store_dwordx2 v[42:43], v[38:39], off offset:-8
	global_store_dwordx4 v[32:33], v[1:4], off
	global_store_dwordx2 v[36:37], v[7:8], off
	ds_write_b32 v8, v31 offset:16
	s_or_b32 exec_lo, exec_lo, s52
                                        ; implicit-def: $vgpr2
.LBB21_234:                             ;   in Loop: Header=BB21_164 Depth=3
	s_andn2_saveexec_b32 s3, s21
.LBB21_235:                             ;   in Loop: Header=BB21_164 Depth=3
	ds_write_b32 v8, v2 offset:16
.LBB21_236:                             ;   in Loop: Header=BB21_164 Depth=3
	s_or_b32 exec_lo, exec_lo, s3
.LBB21_237:                             ;   in Loop: Header=BB21_164 Depth=3
	s_or_b32 exec_lo, exec_lo, s4
	s_waitcnt lgkmcnt(0)
	s_waitcnt_vscnt null, 0x0
	s_barrier
	buffer_gl0_inv
	ds_read_b64 v[1:2], v8 offset:16
	s_waitcnt lgkmcnt(0)
	v_readfirstlane_b32 s3, v2
	v_cmp_eq_u32_e32 vcc_lo, s3, v1
	v_mov_b32_e32 v31, s3
	s_cbranch_vccnz .LBB21_163
; %bb.238:                              ;   in Loop: Header=BB21_164 Depth=3
	s_and_saveexec_b32 s21, s1
	s_cbranch_execz .LBB21_162
; %bb.239:                              ;   in Loop: Header=BB21_164 Depth=3
	ds_read_b32 v1, v8 offset:28
	v_mov_b32_e32 v7, v0
	s_waitcnt lgkmcnt(0)
	v_mul_lo_u32 v3, v1, s31
	v_readfirstlane_b32 s4, v1
	v_ashrrev_i32_e32 v2, 31, v1
	s_sub_i32 s52, s3, s4
	v_lshlrev_b64 v[1:2], 3, v[1:2]
	s_mul_hi_i32 s55, s52, s14
	s_mul_i32 s54, s52, s14
	v_ashrrev_i32_e32 v4, 31, v3
	s_lshl_b64 s[54:55], s[54:55], 3
	s_cmp_gt_i32 s52, 0
	s_cselect_b32 s53, -1, 0
	s_add_i32 s4, s52, -1
	v_lshlrev_b64 v[3:4], 3, v[3:4]
	s_lshl_b64 s[56:57], s[4:5], 3
	s_mul_i32 s3, s19, s4
	v_add_co_u32 v1, vcc_lo, v1, s56
	s_mul_hi_u32 s58, s18, s4
	s_mul_i32 s4, s18, s4
	v_add_co_ci_u32_e64 v2, null, s57, v2, vcc_lo
	v_add_co_u32 v39, vcc_lo, s88, v3
	s_add_i32 s58, s58, s3
	v_add_co_ci_u32_e64 v40, null, s89, v4, vcc_lo
	v_add_co_u32 v3, vcc_lo, s4, v3
	v_add_co_ci_u32_e64 v4, null, s58, v4, vcc_lo
	v_add_co_u32 v1, vcc_lo, s97, v1
	;; [unrolled: 2-line block ×4, first 2 shown]
	v_add_co_ci_u32_e64 v4, null, v62, v4, vcc_lo
	s_mov_b32 s4, 0
	s_branch .LBB21_241
.LBB21_240:                             ;   in Loop: Header=BB21_241 Depth=4
	v_add_nc_u32_e32 v7, s69, v7
	v_add_co_u32 v3, s3, v3, s75
	v_add_co_ci_u32_e64 v4, null, 0, v4, s3
	v_cmp_le_i32_e32 vcc_lo, s24, v7
	s_waitcnt vmcnt(0)
	global_store_dwordx2 v[33:34], v[31:32], off
	s_or_b32 s4, vcc_lo, s4
	s_andn2_b32 exec_lo, exec_lo, s4
	s_cbranch_execz .LBB21_162
.LBB21_241:                             ;   Parent Loop BB21_7 Depth=1
                                        ;     Parent Loop BB21_20 Depth=2
                                        ;       Parent Loop BB21_164 Depth=3
                                        ; =>      This Loop Header: Depth=4
                                        ;           Child Loop BB21_242 Depth 5
	v_lshlrev_b64 v[33:34], 3, v[7:8]
	v_mov_b32_e32 v36, v4
	v_mov_b32_e32 v38, v2
	;; [unrolled: 1-line block ×4, first 2 shown]
	s_mov_b32 s3, s52
	v_add_co_u32 v31, vcc_lo, v41, v33
	v_add_co_ci_u32_e64 v32, null, v42, v34, vcc_lo
	v_add_co_u32 v33, vcc_lo, v39, v33
	v_add_co_ci_u32_e64 v34, null, v40, v34, vcc_lo
	global_load_dwordx2 v[31:32], v[31:32], off
	s_andn2_b32 vcc_lo, exec_lo, s53
	s_cbranch_vccnz .LBB21_240
	.p2align	6
.LBB21_242:                             ;   Parent Loop BB21_7 Depth=1
                                        ;     Parent Loop BB21_20 Depth=2
                                        ;       Parent Loop BB21_164 Depth=3
                                        ;         Parent Loop BB21_241 Depth=4
                                        ; =>        This Inner Loop Header: Depth=5
	v_add_co_u32 v43, vcc_lo, v37, s25
	v_add_co_ci_u32_e64 v44, null, s96, v38, vcc_lo
	s_mul_i32 s55, s3, s15
	s_mul_hi_u32 s57, s3, s14
	global_load_dwordx2 v[45:46], v[35:36], off
	s_clause 0x1
	global_load_dwordx2 v[43:44], v[43:44], off
	global_load_dwordx2 v[47:48], v[37:38], off
	s_mul_i32 s54, s3, s14
	s_add_i32 s55, s57, s55
	v_add_co_u32 v37, vcc_lo, v37, -8
	s_lshl_b64 s[54:55], s[54:55], 3
	s_add_i32 s56, s3, -1
	v_add_co_ci_u32_e64 v38, null, -1, v38, vcc_lo
	v_add_co_u32 v35, vcc_lo, v35, s82
	v_add_co_ci_u32_e64 v36, null, s83, v36, vcc_lo
	s_cmp_eq_u32 s56, 0
	s_waitcnt vmcnt(1)
	v_mul_f64 v[49:50], v[43:44], v[45:46]
	s_waitcnt vmcnt(0)
	v_mul_f64 v[45:46], v[47:48], v[45:46]
	v_fma_f64 v[47:48], v[31:32], v[47:48], -v[49:50]
	v_fma_f64 v[31:32], v[31:32], v[43:44], v[45:46]
	v_add_co_u32 v43, s3, v33, s54
	v_add_co_ci_u32_e64 v44, null, s55, v34, s3
	s_mov_b32 s3, s56
	global_store_dwordx2 v[43:44], v[47:48], off
	s_cbranch_scc0 .LBB21_242
	s_branch .LBB21_240
.LBB21_243:                             ;   in Loop: Header=BB21_164 Depth=3
	s_or_b32 exec_lo, exec_lo, s52
                                        ; implicit-def: $vgpr2
	s_andn2_saveexec_b32 s3, s21
	s_cbranch_execnz .LBB21_235
	s_branch .LBB21_236
.LBB21_244:                             ;   in Loop: Header=BB21_7 Depth=1
	s_mov_b32 s2, exec_lo
	v_cmpx_gt_i32_e64 s20, v0
	s_cbranch_execz .LBB21_5
; %bb.245:                              ;   in Loop: Header=BB21_7 Depth=1
	s_lshl_b64 s[22:23], s[22:23], 3
	v_mov_b32_e32 v3, v0
	v_add_co_u32 v1, vcc_lo, v56, s22
	v_add_co_ci_u32_e64 v2, null, s23, v57, vcc_lo
	s_mov_b32 s3, 0
	s_inst_prefetch 0x1
	s_branch .LBB21_247
	.p2align	6
.LBB21_246:                             ;   in Loop: Header=BB21_247 Depth=2
	s_or_b32 exec_lo, exec_lo, s1
	v_add_nc_u32_e32 v3, s69, v3
	v_add_co_u32 v1, s1, v1, s75
	v_add_co_ci_u32_e64 v2, null, 0, v2, s1
	v_cmp_le_i32_e32 vcc_lo, s20, v3
	s_or_b32 s3, vcc_lo, s3
	s_andn2_b32 exec_lo, exec_lo, s3
	s_cbranch_execz .LBB21_5
.LBB21_247:                             ;   Parent Loop BB21_7 Depth=1
                                        ; =>  This Inner Loop Header: Depth=2
	global_load_dwordx2 v[23:24], v[1:2], off
	s_mov_b32 s1, exec_lo
	s_waitcnt vmcnt(0)
	v_cmpx_neq_f64_e32 0, v[23:24]
	s_cbranch_execz .LBB21_246
; %bb.248:                              ;   in Loop: Header=BB21_247 Depth=2
	s_mov_b32 s4, exec_lo
	v_mbcnt_lo_u32_b32 v4, s4, 0
	v_cmp_eq_u32_e32 vcc_lo, 0, v4
	s_and_b32 s11, exec_lo, vcc_lo
	s_mov_b32 exec_lo, s11
	s_cbranch_execz .LBB21_246
; %bb.249:                              ;   in Loop: Header=BB21_247 Depth=2
	s_bcnt1_i32_b32 s4, s4
	v_mov_b32_e32 v4, s4
	global_atomic_add v8, v4, s[8:9]
	s_branch .LBB21_246
.LBB21_250:
	s_endpgm
.LBB21_251:
                                        ; implicit-def: $sgpr12_sgpr13
	s_branch .LBB21_2
	.section	.rodata,"a",@progbits
	.p2align	6, 0x0
	.amdhsa_kernel _ZN9rocsolver6v33100L19stedcx_solve_kernelIdEEviPT_lS3_lS3_iilPiS3_S4_S2_S2_S2_
		.amdhsa_group_segment_fixed_size 48
		.amdhsa_private_segment_fixed_size 0
		.amdhsa_kernarg_size 368
		.amdhsa_user_sgpr_count 6
		.amdhsa_user_sgpr_private_segment_buffer 1
		.amdhsa_user_sgpr_dispatch_ptr 0
		.amdhsa_user_sgpr_queue_ptr 0
		.amdhsa_user_sgpr_kernarg_segment_ptr 1
		.amdhsa_user_sgpr_dispatch_id 0
		.amdhsa_user_sgpr_flat_scratch_init 0
		.amdhsa_user_sgpr_private_segment_size 0
		.amdhsa_wavefront_size32 1
		.amdhsa_uses_dynamic_stack 0
		.amdhsa_system_sgpr_private_segment_wavefront_offset 0
		.amdhsa_system_sgpr_workgroup_id_x 1
		.amdhsa_system_sgpr_workgroup_id_y 1
		.amdhsa_system_sgpr_workgroup_id_z 1
		.amdhsa_system_sgpr_workgroup_info 0
		.amdhsa_system_vgpr_workitem_id 0
		.amdhsa_next_free_vgpr 74
		.amdhsa_next_free_sgpr 105
		.amdhsa_reserve_vcc 1
		.amdhsa_reserve_flat_scratch 0
		.amdhsa_float_round_mode_32 0
		.amdhsa_float_round_mode_16_64 0
		.amdhsa_float_denorm_mode_32 3
		.amdhsa_float_denorm_mode_16_64 3
		.amdhsa_dx10_clamp 1
		.amdhsa_ieee_mode 1
		.amdhsa_fp16_overflow 0
		.amdhsa_workgroup_processor_mode 1
		.amdhsa_memory_ordered 1
		.amdhsa_forward_progress 1
		.amdhsa_shared_vgpr_count 0
		.amdhsa_exception_fp_ieee_invalid_op 0
		.amdhsa_exception_fp_denorm_src 0
		.amdhsa_exception_fp_ieee_div_zero 0
		.amdhsa_exception_fp_ieee_overflow 0
		.amdhsa_exception_fp_ieee_underflow 0
		.amdhsa_exception_fp_ieee_inexact 0
		.amdhsa_exception_int_div_zero 0
	.end_amdhsa_kernel
	.section	.text._ZN9rocsolver6v33100L19stedcx_solve_kernelIdEEviPT_lS3_lS3_iilPiS3_S4_S2_S2_S2_,"axG",@progbits,_ZN9rocsolver6v33100L19stedcx_solve_kernelIdEEviPT_lS3_lS3_iilPiS3_S4_S2_S2_S2_,comdat
.Lfunc_end21:
	.size	_ZN9rocsolver6v33100L19stedcx_solve_kernelIdEEviPT_lS3_lS3_iilPiS3_S4_S2_S2_S2_, .Lfunc_end21-_ZN9rocsolver6v33100L19stedcx_solve_kernelIdEEviPT_lS3_lS3_iilPiS3_S4_S2_S2_S2_
                                        ; -- End function
	.set _ZN9rocsolver6v33100L19stedcx_solve_kernelIdEEviPT_lS3_lS3_iilPiS3_S4_S2_S2_S2_.num_vgpr, 74
	.set _ZN9rocsolver6v33100L19stedcx_solve_kernelIdEEviPT_lS3_lS3_iilPiS3_S4_S2_S2_S2_.num_agpr, 0
	.set _ZN9rocsolver6v33100L19stedcx_solve_kernelIdEEviPT_lS3_lS3_iilPiS3_S4_S2_S2_S2_.numbered_sgpr, 105
	.set _ZN9rocsolver6v33100L19stedcx_solve_kernelIdEEviPT_lS3_lS3_iilPiS3_S4_S2_S2_S2_.num_named_barrier, 0
	.set _ZN9rocsolver6v33100L19stedcx_solve_kernelIdEEviPT_lS3_lS3_iilPiS3_S4_S2_S2_S2_.private_seg_size, 0
	.set _ZN9rocsolver6v33100L19stedcx_solve_kernelIdEEviPT_lS3_lS3_iilPiS3_S4_S2_S2_S2_.uses_vcc, 1
	.set _ZN9rocsolver6v33100L19stedcx_solve_kernelIdEEviPT_lS3_lS3_iilPiS3_S4_S2_S2_S2_.uses_flat_scratch, 0
	.set _ZN9rocsolver6v33100L19stedcx_solve_kernelIdEEviPT_lS3_lS3_iilPiS3_S4_S2_S2_S2_.has_dyn_sized_stack, 0
	.set _ZN9rocsolver6v33100L19stedcx_solve_kernelIdEEviPT_lS3_lS3_iilPiS3_S4_S2_S2_S2_.has_recursion, 0
	.set _ZN9rocsolver6v33100L19stedcx_solve_kernelIdEEviPT_lS3_lS3_iilPiS3_S4_S2_S2_S2_.has_indirect_call, 0
	.section	.AMDGPU.csdata,"",@progbits
; Kernel info:
; codeLenInByte = 15800
; TotalNumSgprs: 107
; NumVgprs: 74
; ScratchSize: 0
; MemoryBound: 0
; FloatMode: 240
; IeeeMode: 1
; LDSByteSize: 48 bytes/workgroup (compile time only)
; SGPRBlocks: 0
; VGPRBlocks: 9
; NumSGPRsForWavesPerEU: 107
; NumVGPRsForWavesPerEU: 74
; Occupancy: 12
; WaveLimiterHint : 1
; COMPUTE_PGM_RSRC2:SCRATCH_EN: 0
; COMPUTE_PGM_RSRC2:USER_SGPR: 6
; COMPUTE_PGM_RSRC2:TRAP_HANDLER: 0
; COMPUTE_PGM_RSRC2:TGID_X_EN: 1
; COMPUTE_PGM_RSRC2:TGID_Y_EN: 1
; COMPUTE_PGM_RSRC2:TGID_Z_EN: 1
; COMPUTE_PGM_RSRC2:TIDIG_COMP_CNT: 0
	.section	.text._ZN9rocsolver6v33100L26stedcx_mergePrepare_kernelIdEEviiPT_lS3_lS3_iilS3_S3_PiS2_,"axG",@progbits,_ZN9rocsolver6v33100L26stedcx_mergePrepare_kernelIdEEviiPT_lS3_lS3_iilS3_S3_PiS2_,comdat
	.globl	_ZN9rocsolver6v33100L26stedcx_mergePrepare_kernelIdEEviiPT_lS3_lS3_iilS3_S3_PiS2_ ; -- Begin function _ZN9rocsolver6v33100L26stedcx_mergePrepare_kernelIdEEviiPT_lS3_lS3_iilS3_S3_PiS2_
	.p2align	8
	.type	_ZN9rocsolver6v33100L26stedcx_mergePrepare_kernelIdEEviiPT_lS3_lS3_iilS3_S3_PiS2_,@function
_ZN9rocsolver6v33100L26stedcx_mergePrepare_kernelIdEEviiPT_lS3_lS3_iilS3_S3_PiS2_: ; @_ZN9rocsolver6v33100L26stedcx_mergePrepare_kernelIdEEviiPT_lS3_lS3_iilS3_S3_PiS2_
; %bb.0:
	s_clause 0x2
	s_load_dwordx4 s[28:31], s[4:5], 0x28
	s_load_dwordx8 s[12:19], s[4:5], 0x38
	s_load_dwordx2 s[0:1], s[4:5], 0x58
	s_mov_b32 s10, s7
	s_waitcnt lgkmcnt(0)
	s_cmp_lg_u64 s[28:29], 0
	s_cbranch_scc0 .LBB22_82
; %bb.1:
	s_ashr_i32 s9, s8, 31
	s_mul_hi_u32 s2, s12, s8
	s_mul_i32 s3, s12, s9
	s_mul_i32 s7, s13, s8
	s_add_i32 s3, s2, s3
	s_mul_i32 s2, s12, s8
	s_add_i32 s3, s3, s7
	s_ashr_i32 s13, s30, 31
	s_lshl_b64 s[2:3], s[2:3], 3
	s_mov_b32 s12, s30
	s_add_u32 s7, s28, s2
	s_addc_u32 s11, s29, s3
	s_lshl_b64 s[2:3], s[12:13], 3
	s_add_u32 s12, s7, s2
	s_addc_u32 s13, s11, s3
	s_cbranch_execnz .LBB22_3
.LBB22_2:
	s_ashr_i32 s9, s8, 31
                                        ; implicit-def: $sgpr12_sgpr13
.LBB22_3:
	s_load_dwordx2 s[28:29], s[4:5], 0x0
	s_waitcnt lgkmcnt(0)
	s_mul_i32 s2, s29, 5
	s_add_i32 s2, s2, 2
	s_mul_i32 s2, s2, s8
	s_ashr_i32 s3, s2, 31
	s_lshl_b64 s[36:37], s[2:3], 2
	s_mov_b32 s2, s29
	s_add_u32 s7, s18, s36
	s_addc_u32 s30, s19, s37
	s_ashr_i32 s3, s29, 31
	s_lshl_b64 s[38:39], s[2:3], 2
	s_add_u32 s34, s7, s38
	s_addc_u32 s35, s30, s39
	s_load_dword s33, s[34:35], 0x4
	s_waitcnt lgkmcnt(0)
	s_cmp_ge_i32 s10, s33
	s_cbranch_scc1 .LBB22_81
; %bb.4:
	s_load_dwordx8 s[20:27], s[4:5], 0x8
	v_lshlrev_b32_e32 v6, 3, v0
	s_bfm_b32 s59, s28, 0
	v_mov_b32_e32 v3, 0
	v_add_nc_u32_e32 v28, 0, v6
	s_waitcnt lgkmcnt(0)
	s_mul_i32 s3, s22, s9
	s_mul_hi_u32 s11, s22, s8
	s_mul_i32 s23, s23, s8
	s_add_i32 s3, s11, s3
	s_mul_i32 s22, s22, s8
	s_add_i32 s23, s3, s23
	s_mul_i32 s9, s26, s9
	s_lshl_b64 s[22:23], s[22:23], 3
	s_mul_hi_u32 s3, s26, s8
	s_mul_i32 s11, s27, s8
	s_add_u32 s27, s20, s22
	s_addc_u32 s40, s21, s23
	s_add_i32 s3, s3, s9
	s_mul_i32 s20, s26, s8
	s_add_i32 s21, s3, s11
	s_load_dword s3, s[4:5], 0x6c
	s_lshl_b64 s[20:21], s[20:21], 3
	s_add_u32 s26, s24, s20
	s_addc_u32 s41, s25, s21
	s_add_u32 s42, s34, s38
	s_addc_u32 s43, s35, s39
	;; [unrolled: 2-line block ×4, first 2 shown]
	s_lshl_b32 s9, s8, 1
	s_mul_i32 s8, s29, s29
	s_mul_i32 s4, s9, s29
	;; [unrolled: 1-line block ×3, first 2 shown]
	s_ashr_i32 s5, s4, 31
	s_mov_b32 s9, 0
	s_lshl_b64 s[4:5], s[4:5], 3
	s_add_u32 s48, s14, s4
	s_addc_u32 s49, s15, s5
	s_ashr_i32 s21, s20, 31
	s_lshl_b64 s[4:5], s[20:21], 3
	s_add_u32 s11, s16, s4
	s_addc_u32 s14, s17, s5
	s_lshl_b64 s[4:5], s[8:9], 3
	s_add_u32 s50, s11, s4
	s_addc_u32 s51, s14, s5
	s_waitcnt lgkmcnt(0)
	s_bfe_u32 s52, s3, 0xf0001
	s_and_b32 s53, s3, 0xffff
	v_cvt_f32_u32_e32 v1, s52
	s_lshl_b32 s4, s53, 3
	s_lshl_b32 s3, 1, s28
	;; [unrolled: 1-line block ×3, first 2 shown]
	s_not_b32 s54, s28
	v_rcp_iflag_f32_e32 v1, v1
	s_add_i32 s55, s4, 0
	s_cmp_gt_i32 s3, 1
	s_mul_i32 s4, s61, s6
	s_cselect_b32 s56, -1, 0
	s_ashr_i32 s5, s4, 31
	s_cmp_gt_i32 s61, 1
	v_add_nc_u32_e32 v29, s55, v6
	s_cselect_b32 s57, -1, 0
	s_cmp_gt_i32 s29, 0
	v_mul_f32_e32 v1, 0x4f7ffffe, v1
	s_cselect_b32 s58, -1, 0
	s_sub_i32 s3, 0, s52
	s_add_u32 s14, s38, s36
	s_addc_u32 s15, s39, s37
	v_cvt_u32_f32_e32 v1, v1
	s_add_u32 s16, s18, s14
	s_addc_u32 s17, s19, s15
	s_lshl_b32 s20, s53, 2
	s_lshl_b64 s[8:9], s[4:5], 2
	v_mul_lo_u32 v2, s3, v1
	s_and_b32 s38, s20, 0x3fff8
	s_add_u32 s5, s14, s8
	s_mul_i32 s11, s2, 12
	s_mul_hi_i32 s3, s2, 12
	v_cmp_le_u32_e64 s2, s52, v0
	s_mul_i32 s60, s31, s52
	v_mul_hi_u32 v2, v1, v2
	v_add_nc_u32_e32 v1, v1, v2
	v_mul_hi_u32 v4, v0, v1
	v_ldexp_f64 v[1:2], s[0:1], 3
	v_cmp_eq_u32_e64 s0, 0, v0
	v_cmp_gt_u32_e64 s1, s52, v0
	v_mul_lo_u32 v5, v4, s52
	v_add_nc_u32_e32 v7, 1, v4
	v_sub_nc_u32_e32 v5, v0, v5
	v_subrev_nc_u32_e32 v8, s52, v5
	v_cmp_le_u32_e32 vcc_lo, s52, v5
	v_cndmask_b32_e32 v4, v4, v7, vcc_lo
	v_cndmask_b32_e32 v5, v5, v8, vcc_lo
	v_add_nc_u32_e32 v6, 1, v4
	v_cmp_le_u32_e32 vcc_lo, s52, v5
	v_cndmask_b32_e32 v7, v4, v6, vcc_lo
	v_lshl_add_u32 v4, v7, s28, s4
	s_addc_u32 s4, s15, s9
	s_add_u32 s5, s18, s5
	s_addc_u32 s4, s19, s4
	s_add_u32 s28, s5, 12
	v_ashrrev_i32_e32 v5, 31, v4
	s_addc_u32 s39, s4, 0
	s_add_i32 s61, s61, -1
	s_add_u32 s4, s11, s36
	s_addc_u32 s3, s3, s37
	v_lshlrev_b64 v[5:6], 2, v[4:5]
	v_mul_lo_u32 v4, v7, s52
	s_add_u32 s4, s18, s4
	s_addc_u32 s3, s19, s3
	s_add_u32 s36, s4, 8
	s_mov_b32 s14, 0x667f3bcd
	v_add_co_u32 v7, vcc_lo, s16, v5
	v_add_co_ci_u32_e64 v8, null, s17, v6, vcc_lo
	v_sub_nc_u32_e32 v30, v0, v4
	v_add_co_u32 v31, vcc_lo, v7, 12
	v_add_co_ci_u32_e64 v32, null, 0, v8, vcc_lo
	s_addc_u32 s37, s3, 0
	s_mov_b32 s15, 0x3ff6a09e
	s_branch .LBB22_6
.LBB22_5:                               ;   in Loop: Header=BB22_6 Depth=1
	s_inst_prefetch 0x2
	s_add_i32 s10, s10, 8
	s_cmp_ge_i32 s10, s33
	s_cbranch_scc1 .LBB22_81
.LBB22_6:                               ; =>This Loop Header: Depth=1
                                        ;     Child Loop BB22_14 Depth 2
                                        ;     Child Loop BB22_21 Depth 2
	;; [unrolled: 1-line block ×7, first 2 shown]
                                        ;       Child Loop BB22_41 Depth 3
                                        ;         Child Loop BB22_72 Depth 4
                                        ;     Child Loop BB22_77 Depth 2
	s_ashr_i32 s11, s10, 31
	s_lshl_b64 s[4:5], s[10:11], 2
	s_barrier
	s_add_u32 s4, s7, s4
	s_addc_u32 s5, s30, s5
	buffer_gl0_inv
	global_load_dwordx2 v[7:8], v3, s[4:5]
	s_mov_b32 s5, 0
	s_waitcnt vmcnt(0)
	v_readfirstlane_b32 s4, v7
	v_readfirstlane_b32 s3, v8
	s_sub_i32 s3, s3, s4
	s_cmp_lt_i32 s3, 3
	s_cbranch_scc1 .LBB22_11
; %bb.7:                                ;   in Loop: Header=BB22_6 Depth=1
	s_cmp_lt_u32 s3, 5
	s_mov_b32 s5, 1
	s_cbranch_scc1 .LBB22_11
; %bb.8:                                ;   in Loop: Header=BB22_6 Depth=1
	s_cmp_lt_u32 s3, 33
	s_mov_b32 s5, 2
	s_cbranch_scc1 .LBB22_11
; %bb.9:                                ;   in Loop: Header=BB22_6 Depth=1
	s_cmpk_lt_u32 s3, 0xe9
	s_mov_b32 s5, 4
	s_cbranch_scc1 .LBB22_11
; %bb.10:                               ;   in Loop: Header=BB22_6 Depth=1
	s_cmpk_lt_u32 s3, 0x128
	s_cselect_b32 s5, 5, 7
	s_cmpk_lt_u32 s3, 0x79b
	s_cselect_b32 s5, s5, 8
.LBB22_11:                              ;   in Loop: Header=BB22_6 Depth=1
	s_add_i32 s3, s5, s54
	s_lshl_b32 s5, 1, s3
	s_cmp_gt_i32 s3, -1
	s_cselect_b32 s3, s5, 0
	s_cmp_ge_i32 s6, s3
	s_cbranch_scc1 .LBB22_5
; %bb.12:                               ;   in Loop: Header=BB22_6 Depth=1
	s_ashr_i32 s5, s4, 31
	s_lshl_b64 s[16:17], s[4:5], 2
	s_add_u32 s5, s34, s16
	s_addc_u32 s11, s35, s17
	s_add_u32 s18, s42, s16
	s_addc_u32 s19, s43, s17
	v_add_co_u32 v7, vcc_lo, s18, v5
	v_add_co_ci_u32_e64 v8, null, s19, v6, vcc_lo
	v_add_co_u32 v9, vcc_lo, s5, v5
	v_add_co_ci_u32_e64 v10, null, s11, v6, vcc_lo
	s_clause 0x1
	global_load_dword v15, v[7:8], off offset:8
	global_load_dword v9, v[9:10], off offset:8
	s_andn2_b32 vcc_lo, exec_lo, s56
	s_cbranch_vccnz .LBB22_15
; %bb.13:                               ;   in Loop: Header=BB22_6 Depth=1
	v_add_co_u32 v7, vcc_lo, v31, s16
	v_add_co_ci_u32_e64 v8, null, s17, v32, vcc_lo
	s_mov_b32 s3, s59
.LBB22_14:                              ;   Parent Loop BB22_6 Depth=1
                                        ; =>  This Inner Loop Header: Depth=2
	global_load_dword v4, v[7:8], off
	v_add_co_u32 v7, vcc_lo, v7, 4
	v_add_co_ci_u32_e64 v8, null, 0, v8, vcc_lo
	s_add_i32 s3, s3, -1
	s_cmp_eq_u32 s3, 0
	s_waitcnt vmcnt(0)
	v_add_nc_u32_e32 v9, v4, v9
	s_cbranch_scc0 .LBB22_14
.LBB22_15:                              ;   in Loop: Header=BB22_6 Depth=1
	s_waitcnt vmcnt(1)
	v_ashrrev_i32_e32 v16, 31, v15
                                        ; implicit-def: $vgpr7_vgpr8
	s_and_saveexec_b32 s3, s2
	s_xor_b32 s3, exec_lo, s3
; %bb.16:                               ;   in Loop: Header=BB22_6 Depth=1
	v_lshlrev_b64 v[7:8], 3, v[15:16]
	v_add_co_u32 v4, vcc_lo, s26, v7
	v_add_co_ci_u32_e64 v8, null, s41, v8, vcc_lo
	v_add_co_u32 v7, vcc_lo, v4, -8
	v_add_co_ci_u32_e64 v8, null, -1, v8, vcc_lo
; %bb.17:                               ;   in Loop: Header=BB22_6 Depth=1
	s_or_saveexec_b32 s3, s3
	s_waitcnt vmcnt(0)
	v_ashrrev_i32_e32 v10, 31, v9
	s_xor_b32 exec_lo, exec_lo, s3
	s_cbranch_execz .LBB22_19
; %bb.18:                               ;   in Loop: Header=BB22_6 Depth=1
	v_add_co_u32 v7, vcc_lo, v15, v9
	v_add_co_ci_u32_e64 v8, null, v16, v10, vcc_lo
	v_lshlrev_b64 v[7:8], 3, v[7:8]
	v_add_co_u32 v4, vcc_lo, s26, v7
	v_add_co_ci_u32_e64 v8, null, s41, v8, vcc_lo
	v_add_co_u32 v7, vcc_lo, v4, -8
	v_add_co_ci_u32_e64 v8, null, -1, v8, vcc_lo
.LBB22_19:                              ;   in Loop: Header=BB22_6 Depth=1
	s_or_b32 exec_lo, exec_lo, s3
	global_load_dwordx2 v[7:8], v[7:8], off
	v_mov_b32_e32 v11, 0
	v_mov_b32_e32 v13, 0
	;; [unrolled: 1-line block ×4, first 2 shown]
	s_mov_b32 s20, exec_lo
	v_cmpx_lt_i32_e64 v30, v9
	s_cbranch_execz .LBB22_25
; %bb.20:                               ;   in Loop: Header=BB22_6 Depth=1
	v_lshlrev_b64 v[11:12], 3, v[15:16]
	v_lshlrev_b64 v[13:14], 3, v[9:10]
	v_add_nc_u32_e32 v10, v30, v15
	s_mov_b32 s4, 0
	v_add_co_u32 v17, vcc_lo, s12, v11
	v_add_co_ci_u32_e64 v4, null, s13, v12, vcc_lo
	v_ashrrev_i32_e32 v11, 31, v10
	v_add_co_u32 v12, vcc_lo, v17, v13
	v_add_co_ci_u32_e64 v13, null, v4, v14, vcc_lo
	v_lshlrev_b64 v[15:16], 3, v[10:11]
	v_add_co_u32 v12, vcc_lo, v12, -8
	v_add_co_ci_u32_e64 v13, null, -1, v13, vcc_lo
	v_mul_lo_u32 v10, s31, v10
	v_cndmask_b32_e64 v14, v17, v12, s1
	v_add_co_u32 v12, vcc_lo, s48, v15
	v_cndmask_b32_e64 v4, v4, v13, s1
	v_add_co_ci_u32_e64 v13, null, s49, v16, vcc_lo
	v_mov_b32_e32 v17, v30
	s_inst_prefetch 0x1
	.p2align	6
.LBB22_21:                              ;   Parent Loop BB22_6 Depth=1
                                        ; =>  This Inner Loop Header: Depth=2
	v_ashrrev_i32_e32 v11, 31, v10
	v_add_nc_u32_e32 v17, s52, v17
	v_lshlrev_b64 v[18:19], 3, v[10:11]
	v_add_nc_u32_e32 v10, s60, v10
	v_add_co_u32 v18, vcc_lo, v14, v18
	v_add_co_ci_u32_e64 v19, null, v4, v19, vcc_lo
	global_load_dwordx2 v[18:19], v[18:19], off
	s_waitcnt vmcnt(0)
	v_div_scale_f64 v[20:21], null, s[14:15], s[14:15], v[18:19]
	v_div_scale_f64 v[26:27], vcc_lo, v[18:19], s[14:15], v[18:19]
	v_rcp_f64_e32 v[22:23], v[20:21]
	v_fma_f64 v[24:25], -v[20:21], v[22:23], 1.0
	v_fma_f64 v[22:23], v[22:23], v[24:25], v[22:23]
	v_fma_f64 v[24:25], -v[20:21], v[22:23], 1.0
	v_fma_f64 v[22:23], v[22:23], v[24:25], v[22:23]
	v_mul_f64 v[24:25], v[26:27], v[22:23]
	v_fma_f64 v[20:21], -v[20:21], v[24:25], v[26:27]
	v_div_fmas_f64 v[20:21], v[20:21], v[22:23], v[24:25]
	v_cmp_ge_i32_e32 vcc_lo, v17, v9
	s_or_b32 s4, vcc_lo, s4
	v_div_fixup_f64 v[18:19], v[20:21], s[14:15], v[18:19]
	global_store_dwordx2 v[12:13], v[18:19], off
	v_add_co_u32 v12, s3, v12, s38
	v_add_co_ci_u32_e64 v13, null, 0, v13, s3
	s_andn2_b32 exec_lo, exec_lo, s4
	s_cbranch_execnz .LBB22_21
; %bb.22:                               ;   in Loop: Header=BB22_6 Depth=1
	s_inst_prefetch 0x2
	s_or_b32 exec_lo, exec_lo, s4
	v_mov_b32_e32 v11, 0
	v_mov_b32_e32 v13, 0
	;; [unrolled: 1-line block ×5, first 2 shown]
	s_mov_b32 s21, 0
	s_inst_prefetch 0x1
	.p2align	6
.LBB22_23:                              ;   Parent Loop BB22_6 Depth=1
                                        ; =>  This Inner Loop Header: Depth=2
	v_add_co_u32 v17, vcc_lo, s27, v15
	v_add_co_ci_u32_e64 v18, null, s40, v16, vcc_lo
	v_add_co_u32 v19, vcc_lo, s48, v15
	v_add_co_ci_u32_e64 v20, null, s49, v16, vcc_lo
	global_load_dwordx2 v[17:18], v[17:18], off
	global_load_dwordx2 v[19:20], v[19:20], off
	v_add_nc_u32_e32 v4, s52, v4
	v_add_co_u32 v15, s4, v15, s38
	v_add_co_ci_u32_e64 v16, null, 0, v16, s4
	v_cmp_ge_i32_e64 s4, v4, v9
	s_or_b32 s21, s4, s21
	s_waitcnt vmcnt(1)
	v_cmp_gt_f64_e64 vcc_lo, |v[17:18]|, v[13:14]
	s_waitcnt vmcnt(0)
	v_cmp_gt_f64_e64 s3, |v[19:20]|, v[11:12]
	v_and_b32_e32 v10, 0x7fffffff, v18
	v_and_b32_e32 v21, 0x7fffffff, v20
	v_cndmask_b32_e32 v14, v14, v10, vcc_lo
	v_cndmask_b32_e64 v12, v12, v21, s3
	v_cndmask_b32_e32 v13, v13, v17, vcc_lo
	v_cndmask_b32_e64 v11, v11, v19, s3
	s_andn2_b32 exec_lo, exec_lo, s21
	s_cbranch_execnz .LBB22_23
; %bb.24:                               ;   in Loop: Header=BB22_6 Depth=1
	s_inst_prefetch 0x2
	s_or_b32 exec_lo, exec_lo, s21
.LBB22_25:                              ;   in Loop: Header=BB22_6 Depth=1
	s_or_b32 exec_lo, exec_lo, s20
	s_mov_b32 s4, s52
	ds_write_b64 v28, v[13:14]
	ds_write_b64 v29, v[11:12]
	s_waitcnt vmcnt(0) lgkmcnt(0)
	s_waitcnt_vscnt null, 0x0
	s_barrier
	buffer_gl0_inv
	s_inst_prefetch 0x1
	s_branch .LBB22_27
	.p2align	6
.LBB22_26:                              ;   in Loop: Header=BB22_27 Depth=2
	s_or_b32 exec_lo, exec_lo, s20
	s_lshr_b32 s3, s4, 1
	s_cmp_gt_u32 s4, 1
	s_mov_b32 s4, s3
	s_waitcnt lgkmcnt(0)
	s_barrier
	buffer_gl0_inv
	s_cbranch_scc0 .LBB22_29
.LBB22_27:                              ;   Parent Loop BB22_6 Depth=1
                                        ; =>  This Inner Loop Header: Depth=2
	s_mov_b32 s20, exec_lo
	v_cmpx_gt_u32_e64 s4, v0
	s_cbranch_execz .LBB22_26
; %bb.28:                               ;   in Loop: Header=BB22_27 Depth=2
	s_lshl_b32 s3, s4, 3
	v_add_nc_u32_e32 v4, s3, v28
	v_add_nc_u32_e32 v15, s3, v29
	ds_read_b64 v[9:10], v4
	ds_read_b64 v[15:16], v15
	s_waitcnt lgkmcnt(1)
	v_cmp_gt_f64_e32 vcc_lo, v[9:10], v[13:14]
	s_waitcnt lgkmcnt(0)
	v_cmp_gt_f64_e64 s3, v[15:16], v[11:12]
	v_cndmask_b32_e32 v14, v14, v10, vcc_lo
	v_cndmask_b32_e64 v12, v12, v16, s3
	v_cndmask_b32_e32 v13, v13, v9, vcc_lo
	v_cndmask_b32_e64 v11, v11, v15, s3
	ds_write_b64 v28, v[13:14]
	ds_write_b64 v29, v[11:12]
	s_branch .LBB22_26
.LBB22_29:                              ;   in Loop: Header=BB22_6 Depth=1
	s_inst_prefetch 0x2
	s_add_u32 s4, s5, s8
	s_addc_u32 s5, s11, s9
	v_mov_b32_e32 v11, s55
	global_load_dword v4, v3, s[4:5] offset:8
	ds_read_b64 v[9:10], v3
	ds_read_b64 v[11:12], v11
	s_andn2_b32 vcc_lo, exec_lo, s57
	s_waitcnt vmcnt(0)
	v_readfirstlane_b32 s11, v4
	s_cbranch_vccnz .LBB22_32
; %bb.30:                               ;   in Loop: Header=BB22_6 Depth=1
	s_add_u32 s4, s28, s16
	s_addc_u32 s5, s39, s17
	s_mov_b32 s3, s61
.LBB22_31:                              ;   Parent Loop BB22_6 Depth=1
                                        ; =>  This Inner Loop Header: Depth=2
	global_load_dword v4, v3, s[4:5]
	s_waitcnt vmcnt(0)
	v_readfirstlane_b32 s16, v4
	s_add_i32 s11, s16, s11
	s_add_u32 s4, s4, 4
	s_addc_u32 s5, s5, 0
	s_add_i32 s3, s3, -1
	s_cmp_eq_u32 s3, 0
	s_cbranch_scc0 .LBB22_31
.LBB22_32:                              ;   in Loop: Header=BB22_6 Depth=1
	s_add_u32 s4, s18, s8
	s_addc_u32 s5, s19, s9
	s_waitcnt lgkmcnt(0)
	v_cmp_gt_f64_e32 vcc_lo, v[11:12], v[9:10]
	global_load_dword v4, v3, s[4:5] offset:8
	v_add_f64 v[7:8], v[7:8], v[7:8]
	s_mov_b32 s4, exec_lo
	v_cndmask_b32_e32 v10, v10, v12, vcc_lo
	v_cndmask_b32_e32 v9, v9, v11, vcc_lo
	v_mul_f64 v[9:10], v[1:2], v[9:10]
	s_waitcnt vmcnt(0)
	v_readfirstlane_b32 s16, v4
	v_cmpx_gt_i32_e64 s11, v0
	s_cbranch_execz .LBB22_35
; %bb.33:                               ;   in Loop: Header=BB22_6 Depth=1
	v_mov_b32_e32 v4, v0
	s_mov_b32 s5, 0
	.p2align	6
.LBB22_34:                              ;   Parent Loop BB22_6 Depth=1
                                        ; =>  This Inner Loop Header: Depth=2
	v_add_nc_u32_e32 v11, s16, v4
	v_add_nc_u32_e32 v4, s53, v4
	v_ashrrev_i32_e32 v12, 31, v11
	v_lshlrev_b64 v[13:14], 3, v[11:12]
	v_lshlrev_b64 v[11:12], 2, v[11:12]
	v_add_co_u32 v13, vcc_lo, s48, v13
	v_add_co_ci_u32_e64 v14, null, s49, v14, vcc_lo
	v_add_co_u32 v11, s3, s44, v11
	v_add_co_ci_u32_e64 v12, null, s45, v12, s3
	global_load_dwordx2 v[13:14], v[13:14], off
	v_cmp_le_i32_e32 vcc_lo, s11, v4
	s_or_b32 s5, vcc_lo, s5
	s_waitcnt vmcnt(0)
	v_mul_f64 v[13:14], v[7:8], v[13:14]
	v_cmp_nle_f64_e64 s3, |v[13:14]|, v[9:10]
	v_cndmask_b32_e64 v13, 0, 1, s3
	global_store_dword v[11:12], v13, off offset:8
	s_andn2_b32 exec_lo, exec_lo, s5
	s_cbranch_execnz .LBB22_34
.LBB22_35:                              ;   in Loop: Header=BB22_6 Depth=1
	s_or_b32 exec_lo, exec_lo, s4
	s_and_b32 s3, s11, 0x80000001
	s_waitcnt_vscnt null, 0x0
	s_cmp_eq_u32 s3, 1
	s_barrier
	s_cselect_b32 s3, -1, 0
	buffer_gl0_inv
	s_cmp_lg_u32 s3, 0
	s_addc_u32 s5, s11, 0
	s_cmp_lt_i32 s5, 2
	s_cbranch_scc1 .LBB22_73
; %bb.36:                               ;   in Loop: Header=BB22_6 Depth=1
	s_lshr_b32 s3, s5, 31
	s_add_i32 s18, s5, -1
	s_add_i32 s3, s5, s3
	s_add_i32 s20, s5, -2
	s_ashr_i32 s17, s3, 1
	s_mov_b32 s21, 0
	v_cmp_gt_i32_e64 s3, s17, v0
	s_add_i32 s19, s17, -1
	s_branch .LBB22_38
.LBB22_37:                              ;   in Loop: Header=BB22_38 Depth=2
	s_or_b32 exec_lo, exec_lo, s22
	s_add_i32 s21, s21, 1
	s_cmp_eq_u32 s21, s18
	s_cbranch_scc1 .LBB22_73
.LBB22_38:                              ;   Parent Loop BB22_6 Depth=1
                                        ; =>  This Loop Header: Depth=2
                                        ;       Child Loop BB22_41 Depth 3
                                        ;         Child Loop BB22_72 Depth 4
	s_and_saveexec_b32 s22, s3
	s_cbranch_execz .LBB22_37
; %bb.39:                               ;   in Loop: Header=BB22_38 Depth=2
	v_mov_b32_e32 v33, v0
	s_mov_b32 s23, 0
	s_branch .LBB22_41
.LBB22_40:                              ;   in Loop: Header=BB22_41 Depth=3
	s_or_b32 exec_lo, exec_lo, s24
	v_add_nc_u32_e32 v33, s53, v33
	s_waitcnt_vscnt null, 0x0
	s_barrier
	buffer_gl0_inv
	v_cmp_le_i32_e32 vcc_lo, s17, v33
	s_or_b32 s23, vcc_lo, s23
	s_andn2_b32 exec_lo, exec_lo, s23
	s_cbranch_execz .LBB22_37
.LBB22_41:                              ;   Parent Loop BB22_6 Depth=1
                                        ;     Parent Loop BB22_38 Depth=2
                                        ; =>    This Loop Header: Depth=3
                                        ;         Child Loop BB22_72 Depth 4
	v_mov_b32_e32 v4, 0
	s_mov_b32 s4, exec_lo
	v_cmpx_ne_u32_e32 0, v33
	s_cbranch_execz .LBB22_49
; %bb.42:                               ;   in Loop: Header=BB22_41 Depth=3
	v_subrev_nc_u32_e32 v11, s21, v33
	s_mov_b32 s24, exec_lo
	v_lshlrev_b32_e32 v4, 1, v11
	v_cmpx_ge_u32_e64 s21, v33
	s_cbranch_execz .LBB22_48
; %bb.43:                               ;   in Loop: Header=BB22_41 Depth=3
	v_add_nc_u32_e32 v12, s19, v33
	s_mov_b32 s25, exec_lo
	v_cmpx_le_i32_e64 s21, v12
	s_xor_b32 s25, exec_lo, s25
; %bb.44:                               ;   in Loop: Header=BB22_41 Depth=3
	v_sub_nc_u32_e32 v4, 1, v4
                                        ; implicit-def: $vgpr11
; %bb.45:                               ;   in Loop: Header=BB22_41 Depth=3
	s_andn2_saveexec_b32 s25, s25
; %bb.46:                               ;   in Loop: Header=BB22_41 Depth=3
	v_add_lshl_u32 v4, v11, s18, 1
; %bb.47:                               ;   in Loop: Header=BB22_41 Depth=3
	s_or_b32 exec_lo, exec_lo, s25
.LBB22_48:                              ;   in Loop: Header=BB22_41 Depth=3
	s_or_b32 exec_lo, exec_lo, s24
.LBB22_49:                              ;   in Loop: Header=BB22_41 Depth=3
	s_or_b32 exec_lo, exec_lo, s4
	v_sub_nc_u32_e32 v12, s17, v33
	v_add_nc_u32_e32 v11, s21, v33
	s_mov_b32 s4, exec_lo
                                        ; implicit-def: $vgpr13
	v_cmpx_ge_i32_e64 s21, v12
	s_xor_b32 s4, exec_lo, s4
	s_cbranch_execz .LBB22_55
; %bb.50:                               ;   in Loop: Header=BB22_41 Depth=3
	v_sub_nc_u32_e32 v12, s20, v33
	s_mov_b32 s24, exec_lo
                                        ; implicit-def: $vgpr13
	v_cmpx_le_i32_e64 s21, v12
	s_xor_b32 s24, exec_lo, s24
; %bb.51:                               ;   in Loop: Header=BB22_41 Depth=3
	v_sub_nc_u32_e32 v11, s18, v11
	v_lshlrev_b32_e32 v13, 1, v11
                                        ; implicit-def: $vgpr11
; %bb.52:                               ;   in Loop: Header=BB22_41 Depth=3
	s_andn2_saveexec_b32 s24, s24
; %bb.53:                               ;   in Loop: Header=BB22_41 Depth=3
	v_subrev_nc_u32_e32 v11, s5, v11
	v_lshl_add_u32 v13, v11, 1, 3
; %bb.54:                               ;   in Loop: Header=BB22_41 Depth=3
	s_or_b32 exec_lo, exec_lo, s24
                                        ; implicit-def: $vgpr11
.LBB22_55:                              ;   in Loop: Header=BB22_41 Depth=3
	s_andn2_saveexec_b32 s4, s4
; %bb.56:                               ;   in Loop: Header=BB22_41 Depth=3
	v_lshl_or_b32 v13, v11, 1, 1
; %bb.57:                               ;   in Loop: Header=BB22_41 Depth=3
	s_or_b32 exec_lo, exec_lo, s4
	v_min_i32_e32 v11, v4, v13
	s_mov_b32 s24, exec_lo
	v_add_nc_u32_e32 v11, s16, v11
	v_ashrrev_i32_e32 v12, 31, v11
	v_lshlrev_b64 v[14:15], 2, v[11:12]
	v_add_co_u32 v14, vcc_lo, s44, v14
	v_add_co_ci_u32_e64 v15, null, s45, v15, vcc_lo
	global_load_dword v14, v[14:15], off offset:8
	s_waitcnt vmcnt(0)
	v_cmpx_eq_u32_e32 1, v14
	s_cbranch_execz .LBB22_40
; %bb.58:                               ;   in Loop: Header=BB22_41 Depth=3
	v_max_i32_e32 v4, v4, v13
	v_add_nc_u32_e32 v13, s16, v4
	v_cmp_gt_i32_e64 s4, s11, v4
	v_ashrrev_i32_e32 v14, 31, v13
	v_lshlrev_b64 v[15:16], 2, v[13:14]
	v_add_co_u32 v26, vcc_lo, s44, v15
	v_add_co_ci_u32_e64 v27, null, s45, v16, vcc_lo
	global_load_dword v15, v[26:27], off offset:8
	s_waitcnt vmcnt(0)
	v_cmp_eq_u32_e32 vcc_lo, 1, v15
	s_and_b32 s4, vcc_lo, s4
	s_and_b32 exec_lo, exec_lo, s4
	s_cbranch_execz .LBB22_40
; %bb.59:                               ;   in Loop: Header=BB22_41 Depth=3
	v_lshlrev_b64 v[16:17], 3, v[11:12]
	v_lshlrev_b64 v[14:15], 3, v[13:14]
	v_add_co_u32 v18, vcc_lo, s27, v16
	v_add_co_ci_u32_e64 v19, null, s40, v17, vcc_lo
	v_add_co_u32 v20, vcc_lo, s27, v14
	v_add_co_ci_u32_e64 v21, null, s40, v15, vcc_lo
	s_clause 0x1
	global_load_dwordx2 v[18:19], v[18:19], off
	global_load_dwordx2 v[20:21], v[20:21], off
	s_waitcnt vmcnt(0)
	v_add_f64 v[18:19], v[18:19], -v[20:21]
	v_cmp_le_f64_e64 s4, |v[18:19]|, v[9:10]
	s_and_b32 exec_lo, exec_lo, s4
	s_cbranch_execz .LBB22_40
; %bb.60:                               ;   in Loop: Header=BB22_41 Depth=3
	v_add_co_u32 v14, vcc_lo, s48, v14
	v_add_co_ci_u32_e64 v15, null, s49, v15, vcc_lo
	v_add_co_u32 v16, vcc_lo, s48, v16
	v_add_co_ci_u32_e64 v17, null, s49, v17, vcc_lo
	global_load_dwordx2 v[20:21], v[14:15], off
	v_mov_b32_e32 v22, 0
	v_mov_b32_e32 v24, 0
	global_load_dwordx2 v[18:19], v[16:17], off
	v_mov_b32_e32 v23, 0
	v_mov_b32_e32 v25, 0x3ff00000
	s_mov_b32 s4, exec_lo
	global_store_dword v[26:27], v3, off offset:8
	s_waitcnt vmcnt(1)
	v_cmpx_neq_f64_e32 0, v[20:21]
	s_cbranch_execz .LBB22_70
; %bb.61:                               ;   in Loop: Header=BB22_41 Depth=3
	v_xor_b32_e32 v27, 0x80000000, v21
	v_mov_b32_e32 v26, v20
	s_mov_b32 s25, exec_lo
                                        ; implicit-def: $vgpr22_vgpr23
                                        ; implicit-def: $vgpr24_vgpr25
	s_waitcnt vmcnt(0)
	v_cmpx_neq_f64_e32 0, v[18:19]
	s_xor_b32 s25, exec_lo, s25
	s_cbranch_execz .LBB22_67
; %bb.62:                               ;   in Loop: Header=BB22_41 Depth=3
	v_cmp_ngt_f64_e64 s62, |v[20:21]|, |v[18:19]|
                                        ; implicit-def: $vgpr22_vgpr23
                                        ; implicit-def: $vgpr24_vgpr25
	s_and_saveexec_b32 s63, s62
	s_xor_b32 s62, exec_lo, s63
	s_cbranch_execz .LBB22_64
; %bb.63:                               ;   in Loop: Header=BB22_41 Depth=3
	v_div_scale_f64 v[22:23], null, v[18:19], v[18:19], -v[20:21]
	v_div_scale_f64 v[34:35], vcc_lo, -v[20:21], v[18:19], -v[20:21]
	v_rcp_f64_e32 v[24:25], v[22:23]
	v_fma_f64 v[26:27], -v[22:23], v[24:25], 1.0
	v_fma_f64 v[24:25], v[24:25], v[26:27], v[24:25]
	v_fma_f64 v[26:27], -v[22:23], v[24:25], 1.0
	v_fma_f64 v[24:25], v[24:25], v[26:27], v[24:25]
	v_mul_f64 v[26:27], v[34:35], v[24:25]
	v_fma_f64 v[22:23], -v[22:23], v[26:27], v[34:35]
	v_div_fmas_f64 v[22:23], v[22:23], v[24:25], v[26:27]
	v_div_fixup_f64 v[22:23], v[22:23], v[18:19], -v[20:21]
	v_fma_f64 v[24:25], v[22:23], v[22:23], 1.0
	v_cmp_gt_f64_e32 vcc_lo, 0x10000000, v[24:25]
	v_cndmask_b32_e64 v4, 0, 0x100, vcc_lo
	v_ldexp_f64 v[24:25], v[24:25], v4
	v_cndmask_b32_e64 v4, 0, 0xffffff80, vcc_lo
	v_rsq_f64_e32 v[26:27], v[24:25]
	v_cmp_class_f64_e64 vcc_lo, v[24:25], 0x260
	v_mul_f64 v[34:35], v[24:25], v[26:27]
	v_mul_f64 v[26:27], v[26:27], 0.5
	v_fma_f64 v[36:37], -v[26:27], v[34:35], 0.5
	v_fma_f64 v[34:35], v[34:35], v[36:37], v[34:35]
	v_fma_f64 v[26:27], v[26:27], v[36:37], v[26:27]
	v_fma_f64 v[36:37], -v[34:35], v[34:35], v[24:25]
	v_fma_f64 v[34:35], v[36:37], v[26:27], v[34:35]
	v_fma_f64 v[36:37], -v[34:35], v[34:35], v[24:25]
	v_fma_f64 v[26:27], v[36:37], v[26:27], v[34:35]
	v_ldexp_f64 v[26:27], v[26:27], v4
	v_cndmask_b32_e32 v25, v27, v25, vcc_lo
	v_cndmask_b32_e32 v24, v26, v24, vcc_lo
	v_div_scale_f64 v[26:27], null, v[24:25], v[24:25], 1.0
	v_rcp_f64_e32 v[34:35], v[26:27]
	v_fma_f64 v[36:37], -v[26:27], v[34:35], 1.0
	v_fma_f64 v[34:35], v[34:35], v[36:37], v[34:35]
	v_fma_f64 v[36:37], -v[26:27], v[34:35], 1.0
	v_fma_f64 v[34:35], v[34:35], v[36:37], v[34:35]
	v_div_scale_f64 v[36:37], vcc_lo, 1.0, v[24:25], 1.0
	v_mul_f64 v[38:39], v[36:37], v[34:35]
	v_fma_f64 v[26:27], -v[26:27], v[38:39], v[36:37]
	v_div_fmas_f64 v[26:27], v[26:27], v[34:35], v[38:39]
	v_div_fixup_f64 v[24:25], v[26:27], v[24:25], 1.0
	v_mul_f64 v[22:23], v[22:23], v[24:25]
.LBB22_64:                              ;   in Loop: Header=BB22_41 Depth=3
	s_andn2_saveexec_b32 s62, s62
	s_cbranch_execz .LBB22_66
; %bb.65:                               ;   in Loop: Header=BB22_41 Depth=3
	v_div_scale_f64 v[22:23], null, v[20:21], v[20:21], -v[18:19]
	v_div_scale_f64 v[34:35], vcc_lo, -v[18:19], v[20:21], -v[18:19]
	v_rcp_f64_e32 v[24:25], v[22:23]
	v_fma_f64 v[26:27], -v[22:23], v[24:25], 1.0
	v_fma_f64 v[24:25], v[24:25], v[26:27], v[24:25]
	v_fma_f64 v[26:27], -v[22:23], v[24:25], 1.0
	v_fma_f64 v[24:25], v[24:25], v[26:27], v[24:25]
	v_mul_f64 v[26:27], v[34:35], v[24:25]
	v_fma_f64 v[22:23], -v[22:23], v[26:27], v[34:35]
	v_div_fmas_f64 v[22:23], v[22:23], v[24:25], v[26:27]
	v_div_fixup_f64 v[24:25], v[22:23], v[20:21], -v[18:19]
	v_fma_f64 v[22:23], v[24:25], v[24:25], 1.0
	v_cmp_gt_f64_e32 vcc_lo, 0x10000000, v[22:23]
	v_cndmask_b32_e64 v4, 0, 0x100, vcc_lo
	v_ldexp_f64 v[22:23], v[22:23], v4
	v_cndmask_b32_e64 v4, 0, 0xffffff80, vcc_lo
	v_rsq_f64_e32 v[26:27], v[22:23]
	v_cmp_class_f64_e64 vcc_lo, v[22:23], 0x260
	v_mul_f64 v[34:35], v[22:23], v[26:27]
	v_mul_f64 v[26:27], v[26:27], 0.5
	v_fma_f64 v[36:37], -v[26:27], v[34:35], 0.5
	v_fma_f64 v[34:35], v[34:35], v[36:37], v[34:35]
	v_fma_f64 v[26:27], v[26:27], v[36:37], v[26:27]
	v_fma_f64 v[36:37], -v[34:35], v[34:35], v[22:23]
	v_fma_f64 v[34:35], v[36:37], v[26:27], v[34:35]
	v_fma_f64 v[36:37], -v[34:35], v[34:35], v[22:23]
	v_fma_f64 v[26:27], v[36:37], v[26:27], v[34:35]
	v_ldexp_f64 v[26:27], v[26:27], v4
	v_cndmask_b32_e32 v23, v27, v23, vcc_lo
	v_cndmask_b32_e32 v22, v26, v22, vcc_lo
	v_div_scale_f64 v[26:27], null, v[22:23], v[22:23], 1.0
	v_rcp_f64_e32 v[34:35], v[26:27]
	v_fma_f64 v[36:37], -v[26:27], v[34:35], 1.0
	v_fma_f64 v[34:35], v[34:35], v[36:37], v[34:35]
	v_fma_f64 v[36:37], -v[26:27], v[34:35], 1.0
	v_fma_f64 v[34:35], v[34:35], v[36:37], v[34:35]
	v_div_scale_f64 v[36:37], vcc_lo, 1.0, v[22:23], 1.0
	v_mul_f64 v[38:39], v[36:37], v[34:35]
	v_fma_f64 v[26:27], -v[26:27], v[38:39], v[36:37]
	v_div_fmas_f64 v[26:27], v[26:27], v[34:35], v[38:39]
	v_div_fixup_f64 v[22:23], v[26:27], v[22:23], 1.0
	v_mul_f64 v[24:25], v[24:25], v[22:23]
.LBB22_66:                              ;   in Loop: Header=BB22_41 Depth=3
	s_or_b32 exec_lo, exec_lo, s62
	v_mul_f64 v[20:21], v[20:21], v[22:23]
	v_fma_f64 v[26:27], v[18:19], v[24:25], -v[20:21]
.LBB22_67:                              ;   in Loop: Header=BB22_41 Depth=3
	s_andn2_saveexec_b32 s25, s25
; %bb.68:                               ;   in Loop: Header=BB22_41 Depth=3
	v_mov_b32_e32 v24, 0
	v_mov_b32_e32 v22, 0
	v_mov_b32_e32 v25, 0
	v_mov_b32_e32 v23, 0x3ff00000
; %bb.69:                               ;   in Loop: Header=BB22_41 Depth=3
	s_or_b32 exec_lo, exec_lo, s25
	v_mov_b32_e32 v18, v26
	v_mov_b32_e32 v19, v27
.LBB22_70:                              ;   in Loop: Header=BB22_41 Depth=3
	s_or_b32 exec_lo, exec_lo, s4
	v_mov_b32_e32 v4, v3
	s_andn2_b32 vcc_lo, exec_lo, s58
	s_waitcnt vmcnt(0)
	global_store_dwordx2 v[16:17], v[18:19], off
	global_store_dwordx2 v[14:15], v[3:4], off
	s_cbranch_vccnz .LBB22_40
; %bb.71:                               ;   in Loop: Header=BB22_41 Depth=3
	v_mul_lo_u32 v12, v13, s31
	v_mul_lo_u32 v14, v11, s31
	s_mov_b32 s4, s29
	v_ashrrev_i32_e32 v13, 31, v12
	v_ashrrev_i32_e32 v15, 31, v14
	v_lshlrev_b64 v[11:12], 3, v[12:13]
	v_lshlrev_b64 v[13:14], 3, v[14:15]
	v_add_co_u32 v11, vcc_lo, s12, v11
	v_add_co_ci_u32_e64 v12, null, s13, v12, vcc_lo
	v_add_co_u32 v13, vcc_lo, s12, v13
	v_add_co_ci_u32_e64 v14, null, s13, v14, vcc_lo
	.p2align	6
.LBB22_72:                              ;   Parent Loop BB22_6 Depth=1
                                        ;     Parent Loop BB22_38 Depth=2
                                        ;       Parent Loop BB22_41 Depth=3
                                        ; =>      This Inner Loop Header: Depth=4
	global_load_dwordx2 v[15:16], v[11:12], off
	global_load_dwordx2 v[17:18], v[13:14], off
	s_add_i32 s4, s4, -1
	s_cmp_lg_u32 s4, 0
	s_waitcnt vmcnt(1)
	v_mul_f64 v[19:20], v[22:23], v[15:16]
	v_mul_f64 v[15:16], v[24:25], v[15:16]
	s_waitcnt vmcnt(0)
	v_fma_f64 v[19:20], v[24:25], v[17:18], -v[19:20]
	v_fma_f64 v[15:16], v[22:23], v[17:18], v[15:16]
	global_store_dwordx2 v[13:14], v[19:20], off
	global_store_dwordx2 v[11:12], v[15:16], off
	v_add_co_u32 v11, vcc_lo, v11, 8
	v_add_co_ci_u32_e64 v12, null, 0, v12, vcc_lo
	v_add_co_u32 v13, vcc_lo, v13, 8
	v_add_co_ci_u32_e64 v14, null, 0, v14, vcc_lo
	s_cbranch_scc1 .LBB22_72
	s_branch .LBB22_40
.LBB22_73:                              ;   in Loop: Header=BB22_6 Depth=1
	s_cmp_lt_i32 s11, 1
	s_cbranch_scc1 .LBB22_5
; %bb.74:                               ;   in Loop: Header=BB22_6 Depth=1
	v_cmp_gt_f64_e64 s3, 0, v[7:8]
	s_mul_i32 s4, s16, s29
	s_mov_b32 s64, 0
	s_ashr_i32 s5, s4, 31
	s_mov_b32 s22, 0
	s_lshl_b64 s[4:5], s[4:5], 3
	s_add_u32 s62, s50, s4
	s_addc_u32 s63, s51, s5
	s_ashr_i32 s17, s16, 31
	s_lshl_b64 s[18:19], s[16:17], 3
	s_add_u32 s4, s27, s18
	s_addc_u32 s5, s40, s19
	s_add_u32 s18, s48, s18
	s_addc_u32 s19, s49, s19
	s_lshl_b64 s[16:17], s[16:17], 2
	s_mov_b64 s[20:21], s[18:19]
	s_add_u32 s65, s46, s16
	s_addc_u32 s66, s47, s17
	s_add_u32 s16, s36, s16
	s_addc_u32 s17, s37, s17
	s_inst_prefetch 0x1
	s_branch .LBB22_77
	.p2align	6
.LBB22_75:                              ;   in Loop: Header=BB22_77 Depth=2
	s_or_b32 exec_lo, exec_lo, s67
	s_add_i32 s22, s22, 1
.LBB22_76:                              ;   in Loop: Header=BB22_77 Depth=2
	s_add_i32 s64, s64, 1
	s_add_u32 s16, s16, 4
	s_addc_u32 s17, s17, 0
	s_add_u32 s4, s4, 8
	s_addc_u32 s5, s5, 0
	;; [unrolled: 2-line block ×3, first 2 shown]
	s_cmp_lg_u32 s11, s64
	s_cbranch_scc0 .LBB22_5
.LBB22_77:                              ;   Parent Loop BB22_6 Depth=1
                                        ; =>  This Inner Loop Header: Depth=2
	global_load_dword v4, v3, s[16:17]
	s_waitcnt vmcnt(0)
	v_cmp_ne_u32_e32 vcc_lo, 1, v4
	s_cbranch_vccnz .LBB22_76
; %bb.78:                               ;   in Loop: Header=BB22_77 Depth=2
	s_and_saveexec_b32 s67, s0
	s_cbranch_execz .LBB22_75
; %bb.79:                               ;   in Loop: Header=BB22_77 Depth=2
	global_load_dwordx2 v[7:8], v3, s[4:5]
	s_ashr_i32 s23, s22, 31
	v_mov_b32_e32 v9, s64
	s_lshl_b64 s[24:25], s[22:23], 2
	s_add_u32 s68, s65, s24
	s_addc_u32 s69, s66, s25
	s_lshl_b64 s[24:25], s[22:23], 3
	s_add_u32 s70, s62, s24
	s_addc_u32 s71, s63, s25
	s_cmp_eq_u32 s64, s22
	s_waitcnt vmcnt(0)
	v_xor_b32_e32 v4, 0x80000000, v8
	v_cndmask_b32_e64 v8, v8, v4, s3
	global_store_dword v3, v9, s[68:69] offset:8
	global_store_dwordx2 v3, v[7:8], s[70:71]
	s_cbranch_scc1 .LBB22_75
; %bb.80:                               ;   in Loop: Header=BB22_77 Depth=2
	global_load_dwordx2 v[7:8], v3, s[20:21]
	s_add_u32 s24, s18, s24
	s_addc_u32 s25, s19, s25
	s_waitcnt vmcnt(0)
	global_store_dwordx2 v3, v[7:8], s[24:25]
	s_branch .LBB22_75
.LBB22_81:
	s_endpgm
.LBB22_82:
                                        ; implicit-def: $sgpr12_sgpr13
                                        ; implicit-def: $sgpr9
	s_branch .LBB22_2
	.section	.rodata,"a",@progbits
	.p2align	6, 0x0
	.amdhsa_kernel _ZN9rocsolver6v33100L26stedcx_mergePrepare_kernelIdEEviiPT_lS3_lS3_iilS3_S3_PiS2_
		.amdhsa_group_segment_fixed_size 0
		.amdhsa_private_segment_fixed_size 0
		.amdhsa_kernarg_size 352
		.amdhsa_user_sgpr_count 6
		.amdhsa_user_sgpr_private_segment_buffer 1
		.amdhsa_user_sgpr_dispatch_ptr 0
		.amdhsa_user_sgpr_queue_ptr 0
		.amdhsa_user_sgpr_kernarg_segment_ptr 1
		.amdhsa_user_sgpr_dispatch_id 0
		.amdhsa_user_sgpr_flat_scratch_init 0
		.amdhsa_user_sgpr_private_segment_size 0
		.amdhsa_wavefront_size32 1
		.amdhsa_uses_dynamic_stack 0
		.amdhsa_system_sgpr_private_segment_wavefront_offset 0
		.amdhsa_system_sgpr_workgroup_id_x 1
		.amdhsa_system_sgpr_workgroup_id_y 1
		.amdhsa_system_sgpr_workgroup_id_z 1
		.amdhsa_system_sgpr_workgroup_info 0
		.amdhsa_system_vgpr_workitem_id 0
		.amdhsa_next_free_vgpr 40
		.amdhsa_next_free_sgpr 72
		.amdhsa_reserve_vcc 1
		.amdhsa_reserve_flat_scratch 0
		.amdhsa_float_round_mode_32 0
		.amdhsa_float_round_mode_16_64 0
		.amdhsa_float_denorm_mode_32 3
		.amdhsa_float_denorm_mode_16_64 3
		.amdhsa_dx10_clamp 1
		.amdhsa_ieee_mode 1
		.amdhsa_fp16_overflow 0
		.amdhsa_workgroup_processor_mode 1
		.amdhsa_memory_ordered 1
		.amdhsa_forward_progress 1
		.amdhsa_shared_vgpr_count 0
		.amdhsa_exception_fp_ieee_invalid_op 0
		.amdhsa_exception_fp_denorm_src 0
		.amdhsa_exception_fp_ieee_div_zero 0
		.amdhsa_exception_fp_ieee_overflow 0
		.amdhsa_exception_fp_ieee_underflow 0
		.amdhsa_exception_fp_ieee_inexact 0
		.amdhsa_exception_int_div_zero 0
	.end_amdhsa_kernel
	.section	.text._ZN9rocsolver6v33100L26stedcx_mergePrepare_kernelIdEEviiPT_lS3_lS3_iilS3_S3_PiS2_,"axG",@progbits,_ZN9rocsolver6v33100L26stedcx_mergePrepare_kernelIdEEviiPT_lS3_lS3_iilS3_S3_PiS2_,comdat
.Lfunc_end22:
	.size	_ZN9rocsolver6v33100L26stedcx_mergePrepare_kernelIdEEviiPT_lS3_lS3_iilS3_S3_PiS2_, .Lfunc_end22-_ZN9rocsolver6v33100L26stedcx_mergePrepare_kernelIdEEviiPT_lS3_lS3_iilS3_S3_PiS2_
                                        ; -- End function
	.set _ZN9rocsolver6v33100L26stedcx_mergePrepare_kernelIdEEviiPT_lS3_lS3_iilS3_S3_PiS2_.num_vgpr, 40
	.set _ZN9rocsolver6v33100L26stedcx_mergePrepare_kernelIdEEviiPT_lS3_lS3_iilS3_S3_PiS2_.num_agpr, 0
	.set _ZN9rocsolver6v33100L26stedcx_mergePrepare_kernelIdEEviiPT_lS3_lS3_iilS3_S3_PiS2_.numbered_sgpr, 72
	.set _ZN9rocsolver6v33100L26stedcx_mergePrepare_kernelIdEEviiPT_lS3_lS3_iilS3_S3_PiS2_.num_named_barrier, 0
	.set _ZN9rocsolver6v33100L26stedcx_mergePrepare_kernelIdEEviiPT_lS3_lS3_iilS3_S3_PiS2_.private_seg_size, 0
	.set _ZN9rocsolver6v33100L26stedcx_mergePrepare_kernelIdEEviiPT_lS3_lS3_iilS3_S3_PiS2_.uses_vcc, 1
	.set _ZN9rocsolver6v33100L26stedcx_mergePrepare_kernelIdEEviiPT_lS3_lS3_iilS3_S3_PiS2_.uses_flat_scratch, 0
	.set _ZN9rocsolver6v33100L26stedcx_mergePrepare_kernelIdEEviiPT_lS3_lS3_iilS3_S3_PiS2_.has_dyn_sized_stack, 0
	.set _ZN9rocsolver6v33100L26stedcx_mergePrepare_kernelIdEEviiPT_lS3_lS3_iilS3_S3_PiS2_.has_recursion, 0
	.set _ZN9rocsolver6v33100L26stedcx_mergePrepare_kernelIdEEviiPT_lS3_lS3_iilS3_S3_PiS2_.has_indirect_call, 0
	.section	.AMDGPU.csdata,"",@progbits
; Kernel info:
; codeLenInByte = 4484
; TotalNumSgprs: 74
; NumVgprs: 40
; ScratchSize: 0
; MemoryBound: 0
; FloatMode: 240
; IeeeMode: 1
; LDSByteSize: 0 bytes/workgroup (compile time only)
; SGPRBlocks: 0
; VGPRBlocks: 4
; NumSGPRsForWavesPerEU: 74
; NumVGPRsForWavesPerEU: 40
; Occupancy: 16
; WaveLimiterHint : 1
; COMPUTE_PGM_RSRC2:SCRATCH_EN: 0
; COMPUTE_PGM_RSRC2:USER_SGPR: 6
; COMPUTE_PGM_RSRC2:TRAP_HANDLER: 0
; COMPUTE_PGM_RSRC2:TGID_X_EN: 1
; COMPUTE_PGM_RSRC2:TGID_Y_EN: 1
; COMPUTE_PGM_RSRC2:TGID_Z_EN: 1
; COMPUTE_PGM_RSRC2:TIDIG_COMP_CNT: 0
	.section	.text._ZN9rocsolver6v33100L25stedcx_mergeValues_kernelIdEEviiPT_lS3_lS3_S3_PiS2_S2_S2_,"axG",@progbits,_ZN9rocsolver6v33100L25stedcx_mergeValues_kernelIdEEviiPT_lS3_lS3_S3_PiS2_S2_S2_,comdat
	.globl	_ZN9rocsolver6v33100L25stedcx_mergeValues_kernelIdEEviiPT_lS3_lS3_S3_PiS2_S2_S2_ ; -- Begin function _ZN9rocsolver6v33100L25stedcx_mergeValues_kernelIdEEviiPT_lS3_lS3_S3_PiS2_S2_S2_
	.p2align	8
	.type	_ZN9rocsolver6v33100L25stedcx_mergeValues_kernelIdEEviiPT_lS3_lS3_S3_PiS2_S2_S2_,@function
_ZN9rocsolver6v33100L25stedcx_mergeValues_kernelIdEEviiPT_lS3_lS3_S3_PiS2_S2_S2_: ; @_ZN9rocsolver6v33100L25stedcx_mergeValues_kernelIdEEviiPT_lS3_lS3_S3_PiS2_S2_S2_
; %bb.0:
	s_clause 0x1
	s_load_dwordx2 s[28:29], s[4:5], 0x0
	s_load_dwordx16 s[12:27], s[4:5], 0x8
	s_waitcnt lgkmcnt(0)
	s_mul_i32 s0, s29, 5
	s_mov_b32 s30, s29
	s_add_i32 s0, s0, 2
	s_mul_i32 s0, s0, s8
	s_ashr_i32 s1, s0, 31
	s_lshl_b64 s[0:1], s[0:1], 2
	s_add_u32 s33, s24, s0
	s_addc_u32 s48, s25, s1
	s_ashr_i32 s31, s29, 31
	s_lshl_b64 s[2:3], s[30:31], 2
	s_add_u32 s34, s33, s2
	s_addc_u32 s35, s48, s3
	s_load_dword s49, s[34:35], 0x4
	s_waitcnt lgkmcnt(0)
	s_cmp_ge_i32 s7, s49
	s_cbranch_scc1 .LBB23_254
; %bb.1:
	s_mov_b32 s10, s7
	s_ashr_i32 s7, s8, 31
	s_mul_hi_u32 s9, s14, s8
	s_mul_i32 s11, s14, s7
	s_mul_i32 s15, s15, s8
	s_add_i32 s9, s9, s11
	s_mul_i32 s14, s14, s8
	s_add_i32 s15, s9, s15
	s_mul_hi_u32 s9, s18, s8
	s_lshl_b64 s[14:15], s[14:15], 3
	s_mul_i32 s7, s18, s7
	s_add_u32 s50, s12, s14
	s_addc_u32 s51, s13, s15
	s_add_i32 s7, s9, s7
	s_mul_i32 s9, s19, s8
	s_mul_i32 s12, s18, s8
	s_add_i32 s13, s7, s9
                                        ; implicit-def: $vgpr77 : SGPR spill to VGPR lane
	v_mul_lo_u32 v64, v0, s30
	s_lshl_b64 s[12:13], s[12:13], 3
	v_lshlrev_b32_e32 v62, 1, v0
	s_add_u32 s52, s16, s12
	s_addc_u32 s53, s17, s13
	s_add_u32 s54, s34, s2
	s_addc_u32 s55, s35, s3
	;; [unrolled: 2-line block ×3, first 2 shown]
	s_add_u32 s7, s56, s2
	v_cvt_f32_u32_e32 v63, v0
	v_writelane_b32 v77, s7, 0
	s_addc_u32 s7, s57, s3
	v_mov_b32_e32 v10, 0
	v_writelane_b32 v77, s7, 1
	s_lshl_b32 s7, s8, 1
	s_mul_i32 s8, s7, s29
	s_ashr_i32 s9, s8, 31
	s_lshl_b64 s[12:13], s[8:9], 3
	s_mul_i32 s8, s29, s29
	s_add_u32 s29, s20, s12
	s_addc_u32 s60, s21, s13
	s_lshl_b64 s[12:13], s[30:31], 3
	s_mul_i32 s14, s7, s8
	s_add_u32 s61, s29, s12
	s_addc_u32 s62, s60, s13
	s_ashr_i32 s15, s14, 31
	s_mov_b32 s9, 0
	s_lshl_b64 s[20:21], s[14:15], 3
	s_add_u32 s7, s22, s20
	s_addc_u32 s11, s23, s21
	s_lshl_b64 s[36:37], s[8:9], 3
	s_add_u32 s63, s7, s36
	s_addc_u32 s64, s11, s37
	s_not_b32 s65, s28
	s_lshl_b32 s7, 1, s28
	s_lshl_b32 s71, 2, s28
	s_add_u32 s14, s4, 0x58
	s_addc_u32 s15, s5, 0
	s_cmp_gt_i32 s7, 1
	s_mul_i32 s16, s71, s6
	s_cselect_b32 s66, -1, 0
	s_ashr_i32 s17, s16, 31
	s_cmp_gt_i32 s71, 1
	s_cselect_b32 s67, -1, 0
	s_add_u32 s2, s2, s0
	s_addc_u32 s3, s3, s1
	s_add_u32 s4, s24, s2
	s_addc_u32 s5, s25, s3
	;; [unrolled: 2-line block ×3, first 2 shown]
	s_lshl_b64 s[18:19], s[16:17], 2
	v_writelane_b32 v77, s4, 2
	s_add_u32 s2, s2, s18
	s_addc_u32 s3, s3, s19
	s_add_u32 s2, s24, s2
	s_addc_u32 s3, s25, s3
	s_add_u32 s17, s2, 12
	s_mul_i32 s2, s30, 12
	s_addc_u32 s70, s3, 0
	s_add_i32 s71, s71, -1
	s_mul_hi_i32 s3, s30, 12
	s_add_u32 s2, s2, s0
	s_addc_u32 s3, s3, s1
	s_add_u32 s2, s24, s2
	s_addc_u32 s3, s25, s3
	;; [unrolled: 2-line block ×3, first 2 shown]
	s_lshl_b64 s[2:3], s[30:31], 4
	s_add_u32 s0, s2, s0
	s_addc_u32 s1, s3, s1
	s_add_u32 s0, s24, s0
	s_addc_u32 s1, s25, s1
	s_add_u32 s74, s0, 8
	s_addc_u32 s75, s1, 0
	s_add_u32 s76, s29, 8
	s_addc_u32 s77, s60, 0
	s_add_u32 s0, s20, s36
	s_addc_u32 s1, s21, s37
	s_add_u32 s78, s22, s0
	s_addc_u32 s79, s23, s1
	s_branch .LBB23_4
.LBB23_2:                               ;   in Loop: Header=BB23_4 Depth=1
	s_or_b32 exec_lo, exec_lo, s7
.LBB23_3:                               ;   in Loop: Header=BB23_4 Depth=1
	s_add_i32 s10, s10, 8
	s_cmp_ge_i32 s10, s49
	s_cbranch_scc1 .LBB23_254
.LBB23_4:                               ; =>This Loop Header: Depth=1
                                        ;     Child Loop BB23_12 Depth 2
                                        ;     Child Loop BB23_19 Depth 2
                                        ;     Child Loop BB23_22 Depth 2
                                        ;     Child Loop BB23_26 Depth 2
                                        ;       Child Loop BB23_29 Depth 3
                                        ;     Child Loop BB23_34 Depth 2
                                        ;       Child Loop BB23_36 Depth 3
                                        ;     Child Loop BB23_40 Depth 2
                                        ;     Child Loop BB23_44 Depth 2
                                        ;       Child Loop BB23_49 Depth 3
                                        ;       Child Loop BB23_56 Depth 3
	;; [unrolled: 1-line block ×10, first 2 shown]
                                        ;         Child Loop BB23_166 Depth 4
                                        ;         Child Loop BB23_170 Depth 4
                                        ;       Child Loop BB23_176 Depth 3
                                        ;       Child Loop BB23_192 Depth 3
	;; [unrolled: 1-line block ×5, first 2 shown]
                                        ;         Child Loop BB23_236 Depth 4
                                        ;     Child Loop BB23_246 Depth 2
                                        ;       Child Loop BB23_250 Depth 3
	s_ashr_i32 s11, s10, 31
	s_lshl_b64 s[0:1], s[10:11], 2
	s_barrier
	s_add_u32 s0, s33, s0
	s_addc_u32 s1, s48, s1
	buffer_gl0_inv
	global_load_dwordx2 v[1:2], v10, s[0:1]
	s_mov_b32 s2, s9
	s_waitcnt vmcnt(0)
	v_readfirstlane_b32 s0, v1
	v_readfirstlane_b32 s1, v2
	s_sub_i32 s1, s1, s0
	s_cmp_lt_i32 s1, 3
	s_cbranch_scc1 .LBB23_9
; %bb.5:                                ;   in Loop: Header=BB23_4 Depth=1
	s_cmp_lt_u32 s1, 5
	s_mov_b32 s2, 1
	s_cbranch_scc1 .LBB23_9
; %bb.6:                                ;   in Loop: Header=BB23_4 Depth=1
	s_cmp_lt_u32 s1, 33
	s_mov_b32 s2, 2
	s_cbranch_scc1 .LBB23_9
; %bb.7:                                ;   in Loop: Header=BB23_4 Depth=1
	s_cmpk_lt_u32 s1, 0xe9
	s_mov_b32 s2, 4
	s_cbranch_scc1 .LBB23_9
; %bb.8:                                ;   in Loop: Header=BB23_4 Depth=1
	s_cmpk_lt_u32 s1, 0x128
	s_cselect_b32 s2, 5, 7
	s_cmpk_lt_u32 s1, 0x79b
	s_cselect_b32 s2, s2, 8
.LBB23_9:                               ;   in Loop: Header=BB23_4 Depth=1
	s_add_i32 s1, s2, s65
	s_lshl_b32 s2, 1, s1
	s_cmp_gt_i32 s1, -1
	s_cselect_b32 s1, s2, 0
	s_cmp_ge_i32 s6, s1
	s_cbranch_scc1 .LBB23_3
; %bb.10:                               ;   in Loop: Header=BB23_4 Depth=1
	s_load_dword s7, s[14:15], 0xc
	s_ashr_i32 s1, s0, 31
	s_lshl_b64 s[0:1], s[0:1], 2
	s_add_u32 s4, s34, s0
	s_addc_u32 s5, s35, s1
	s_add_u32 s2, s54, s0
	s_addc_u32 s3, s55, s1
	s_waitcnt lgkmcnt(0)
	s_bfe_u32 s8, s7, 0xf0001
	v_cvt_f32_u32_e32 v1, s8
	v_rcp_iflag_f32_e32 v2, v1
	v_mul_f32_e32 v2, v63, v2
	v_trunc_f32_e32 v2, v2
	v_fma_f32 v3, -v2, v1, v63
	v_cvt_u32_f32_e32 v2, v2
	v_cmp_ge_f32_e64 vcc_lo, |v3|, v1
	v_add_co_ci_u32_e64 v1, null, 0, v2, vcc_lo
	v_and_b32_e32 v1, 0x7fff, v1
	v_lshl_add_u32 v1, v1, s28, s16
	v_ashrrev_i32_e32 v2, 31, v1
	v_lshlrev_b64 v[2:3], 2, v[1:2]
	v_add_co_u32 v4, vcc_lo, s2, v2
	v_add_co_ci_u32_e64 v5, null, s3, v3, vcc_lo
	v_add_co_u32 v6, vcc_lo, s4, v2
	v_add_co_ci_u32_e64 v7, null, s5, v3, vcc_lo
	s_clause 0x1
	global_load_dword v1, v[4:5], off offset:8
	global_load_dword v5, v[6:7], off offset:8
	s_andn2_b32 vcc_lo, exec_lo, s66
	s_cbranch_vccnz .LBB23_13
; %bb.11:                               ;   in Loop: Header=BB23_4 Depth=1
	v_readlane_b32 s11, v77, 2
	s_add_u32 s11, s11, s0
	s_addc_u32 s20, s69, s1
	v_add_co_u32 v2, vcc_lo, s11, v2
	v_add_co_ci_u32_e64 v3, null, s20, v3, vcc_lo
	s_bfm_b32 s11, s28, 0
.LBB23_12:                              ;   Parent Loop BB23_4 Depth=1
                                        ; =>  This Inner Loop Header: Depth=2
	global_load_dword v4, v[2:3], off
	v_add_co_u32 v2, vcc_lo, v2, 4
	v_add_co_ci_u32_e64 v3, null, 0, v3, vcc_lo
	s_add_i32 s11, s11, -1
	s_cmp_eq_u32 s11, 0
	s_waitcnt vmcnt(0)
	v_add_nc_u32_e32 v5, v4, v5
	s_cbranch_scc0 .LBB23_12
.LBB23_13:                              ;   in Loop: Header=BB23_4 Depth=1
	s_waitcnt vmcnt(1)
	v_ashrrev_i32_e32 v2, 31, v1
	s_and_b32 s11, s7, 0xffff
	s_mov_b32 s7, exec_lo
                                        ; implicit-def: $vgpr3_vgpr4
	v_cmpx_le_u32_e64 s8, v0
	s_xor_b32 s7, exec_lo, s7
; %bb.14:                               ;   in Loop: Header=BB23_4 Depth=1
	v_lshlrev_b64 v[1:2], 3, v[1:2]
                                        ; implicit-def: $vgpr5
	v_add_co_u32 v1, vcc_lo, s52, v1
	v_add_co_ci_u32_e64 v2, null, s53, v2, vcc_lo
	v_add_co_u32 v3, vcc_lo, v1, -8
	v_add_co_ci_u32_e64 v4, null, -1, v2, vcc_lo
                                        ; implicit-def: $vgpr1
; %bb.15:                               ;   in Loop: Header=BB23_4 Depth=1
	s_andn2_saveexec_b32 s7, s7
	s_cbranch_execz .LBB23_17
; %bb.16:                               ;   in Loop: Header=BB23_4 Depth=1
	s_waitcnt vmcnt(0)
	v_ashrrev_i32_e32 v3, 31, v5
	v_add_co_u32 v1, vcc_lo, v1, v5
	v_add_co_ci_u32_e64 v2, null, v2, v3, vcc_lo
	v_lshlrev_b64 v[1:2], 3, v[1:2]
	v_add_co_u32 v1, vcc_lo, s52, v1
	v_add_co_ci_u32_e64 v2, null, s53, v2, vcc_lo
	v_add_co_u32 v3, vcc_lo, v1, -8
	v_add_co_ci_u32_e64 v4, null, -1, v2, vcc_lo
.LBB23_17:                              ;   in Loop: Header=BB23_4 Depth=1
	s_or_b32 exec_lo, exec_lo, s7
	s_add_u32 s4, s4, s18
	s_addc_u32 s5, s5, s19
	s_andn2_b32 vcc_lo, exec_lo, s67
	global_load_dword v1, v10, s[4:5] offset:8
	global_load_dwordx2 v[5:6], v[3:4], off
	s_waitcnt vmcnt(1)
	v_readfirstlane_b32 s80, v1
	s_cbranch_vccnz .LBB23_20
; %bb.18:                               ;   in Loop: Header=BB23_4 Depth=1
	s_add_u32 s0, s17, s0
	s_addc_u32 s1, s70, s1
	s_mov_b32 s4, s71
.LBB23_19:                              ;   Parent Loop BB23_4 Depth=1
                                        ; =>  This Inner Loop Header: Depth=2
	global_load_dword v1, v10, s[0:1]
	s_waitcnt vmcnt(0)
	v_readfirstlane_b32 s5, v1
	s_add_i32 s80, s5, s80
	s_add_u32 s0, s0, 4
	s_addc_u32 s1, s1, 0
	s_add_i32 s4, s4, -1
	s_cmp_eq_u32 s4, 0
	s_cbranch_scc0 .LBB23_19
.LBB23_20:                              ;   in Loop: Header=BB23_4 Depth=1
	s_add_u32 s0, s2, s18
	s_addc_u32 s1, s3, s19
	s_mov_b32 s20, 0
	global_load_dword v1, v10, s[0:1] offset:8
	s_waitcnt vmcnt(0)
	v_readfirstlane_b32 s22, v1
	s_ashr_i32 s23, s22, 31
	s_cmp_gt_i32 s80, 0
	s_cselect_b32 s81, -1, 0
	s_cmp_lt_i32 s80, 1
	s_cbranch_scc1 .LBB23_23
; %bb.21:                               ;   in Loop: Header=BB23_4 Depth=1
	s_lshl_b64 s[0:1], s[22:23], 2
	s_mov_b32 s2, s80
	s_add_u32 s0, s72, s0
	s_addc_u32 s1, s73, s1
.LBB23_22:                              ;   Parent Loop BB23_4 Depth=1
                                        ; =>  This Inner Loop Header: Depth=2
	global_load_dword v1, v10, s[0:1]
	s_waitcnt vmcnt(0)
	v_readfirstlane_b32 s3, v1
	s_cmp_eq_u32 s3, 1
	s_cselect_b32 s3, -1, 0
	s_cmp_lg_u32 s3, 0
	s_addc_u32 s20, s20, 0
	s_add_i32 s2, s2, -1
	s_add_u32 s0, s0, 4
	s_addc_u32 s1, s1, 0
	s_cmp_eq_u32 s2, 0
	s_cbranch_scc0 .LBB23_22
.LBB23_23:                              ;   in Loop: Header=BB23_4 Depth=1
	s_mul_i32 s2, s22, s30
	s_ashr_i32 s3, s2, 31
	s_cmp_eq_u32 s20, 0
	s_cbranch_scc1 .LBB23_31
; %bb.24:                               ;   in Loop: Header=BB23_4 Depth=1
	s_lshl_b64 s[4:5], s[22:23], 2
	s_add_i32 s1, s20, -1
	s_lshl_b32 s7, s11, 1
	s_add_u32 s8, s74, s4
	s_addc_u32 s21, s75, s5
	s_lshl_b64 s[4:5], s[22:23], 3
	s_lshl_b32 s24, s11, 3
	s_add_u32 s25, s76, s4
	s_addc_u32 s31, s77, s5
	s_lshl_b64 s[4:5], s[2:3], 3
	s_lshl_b32 s36, s11, 4
	s_add_u32 s37, s78, s4
	s_addc_u32 s38, s79, s5
	s_mov_b32 s39, 0
	s_mov_b32 s40, 0
	s_branch .LBB23_26
.LBB23_25:                              ;   in Loop: Header=BB23_26 Depth=2
	s_inst_prefetch 0x2
	s_or_b32 exec_lo, exec_lo, s41
	s_add_i32 s39, s39, 1
	s_xor_b32 s40, s40, -1
	s_cmp_eq_u32 s39, s20
	s_waitcnt_vscnt null, 0x0
	s_barrier
	buffer_gl0_inv
	s_cbranch_scc1 .LBB23_31
.LBB23_26:                              ;   Parent Loop BB23_4 Depth=1
                                        ; =>  This Loop Header: Depth=2
                                        ;       Child Loop BB23_29 Depth 3
	v_and_or_b32 v9, s39, 1, v62
	s_mov_b32 s41, exec_lo
	v_cmpx_gt_i32_e64 s1, v9
	s_cbranch_execz .LBB23_25
; %bb.27:                               ;   in Loop: Header=BB23_26 Depth=2
	v_cndmask_b32_e64 v1, 0, 1, s40
	s_mov_b64 s[4:5], 0
	s_mov_b32 s42, 0
	v_add_nc_u32_e32 v1, v62, v1
	v_lshlrev_b32_e32 v2, 2, v1
	v_lshlrev_b32_e32 v1, 3, v1
	v_add_co_u32 v7, s0, s8, v2
	v_add_co_ci_u32_e64 v8, null, s21, 0, s0
	v_add_co_u32 v13, s0, s25, v1
	v_add_co_ci_u32_e64 v14, null, s31, 0, s0
	;; [unrolled: 2-line block ×3, first 2 shown]
	s_inst_prefetch 0x1
	s_branch .LBB23_29
	.p2align	6
.LBB23_28:                              ;   in Loop: Header=BB23_29 Depth=3
	s_or_b32 exec_lo, exec_lo, s0
	v_add_nc_u32_e32 v9, s7, v9
	v_add_co_u32 v7, s0, v7, s24
	v_add_co_ci_u32_e64 v8, null, 0, v8, s0
	v_cmp_le_i32_e32 vcc_lo, s1, v9
	s_add_u32 s4, s4, s36
	s_addc_u32 s5, s5, 0
	s_or_b32 s42, vcc_lo, s42
	s_andn2_b32 exec_lo, exec_lo, s42
	s_cbranch_execz .LBB23_25
.LBB23_29:                              ;   Parent Loop BB23_4 Depth=1
                                        ;     Parent Loop BB23_26 Depth=2
                                        ; =>    This Inner Loop Header: Depth=3
	v_add_co_u32 v11, vcc_lo, v15, s4
	v_add_co_ci_u32_e64 v12, null, s5, v16, vcc_lo
	s_mov_b32 s0, exec_lo
	global_load_dwordx4 v[1:4], v[11:12], off
	s_waitcnt vmcnt(0)
	v_cmpx_gt_f64_e32 v[1:2], v[3:4]
	s_cbranch_execz .LBB23_28
; %bb.30:                               ;   in Loop: Header=BB23_29 Depth=3
	v_mov_b32_e32 v17, v3
	v_mov_b32_e32 v18, v4
	;; [unrolled: 1-line block ×4, first 2 shown]
	v_add_co_u32 v21, vcc_lo, v13, s4
	v_add_co_ci_u32_e64 v22, null, s5, v14, vcc_lo
	global_store_dwordx4 v[11:12], v[17:20], off
	global_load_dwordx2 v[11:12], v[7:8], off
	global_load_dwordx4 v[1:4], v[21:22], off offset:-8
	s_waitcnt vmcnt(1)
	v_mov_b32_e32 v23, v12
	s_waitcnt vmcnt(0)
	v_mov_b32_e32 v17, v3
	v_mov_b32_e32 v18, v4
	;; [unrolled: 1-line block ×5, first 2 shown]
	global_store_dwordx4 v[21:22], v[17:20], off offset:-8
	global_store_dwordx2 v[7:8], v[23:24], off
	s_branch .LBB23_28
.LBB23_31:                              ;   in Loop: Header=BB23_4 Depth=1
	s_lshl_b64 s[4:5], s[2:3], 3
	v_cmp_gt_u32_e64 s0, s20, v0
	s_add_u32 s82, s63, s4
	s_addc_u32 s83, s64, s5
	s_and_saveexec_b32 s2, s0
	s_cbranch_execz .LBB23_38
; %bb.32:                               ;   in Loop: Header=BB23_4 Depth=1
	s_mul_i32 s3, s80, s30
	v_add_nc_u32_e32 v1, s30, v0
	v_mov_b32_e32 v9, v0
	s_cmp_lt_i32 s30, s3
	s_mov_b32 s24, 0
	s_cselect_b32 s7, -1, 0
	s_add_u32 s8, s78, s4
	s_addc_u32 s21, s79, s5
	s_inst_prefetch 0x1
	s_branch .LBB23_34
	.p2align	6
.LBB23_33:                              ;   in Loop: Header=BB23_34 Depth=2
	v_add_nc_u32_e32 v9, s11, v9
	v_add_nc_u32_e32 v1, s11, v1
	v_cmp_le_u32_e32 vcc_lo, s20, v9
	s_or_b32 s24, vcc_lo, s24
	s_andn2_b32 exec_lo, exec_lo, s24
	s_cbranch_execz .LBB23_38
.LBB23_34:                              ;   Parent Loop BB23_4 Depth=1
                                        ; =>  This Loop Header: Depth=2
                                        ;       Child Loop BB23_36 Depth 3
	s_andn2_b32 vcc_lo, exec_lo, s7
	s_cbranch_vccnz .LBB23_33
; %bb.35:                               ;   in Loop: Header=BB23_34 Depth=2
	v_lshlrev_b64 v[2:3], 3, v[9:10]
	v_add_nc_u32_e32 v11, s30, v9
	s_mov_b32 s25, 0
	v_add_co_u32 v2, vcc_lo, s82, v2
	v_add_co_ci_u32_e64 v3, null, s83, v3, vcc_lo
	global_load_dwordx2 v[3:4], v[2:3], off
	v_ashrrev_i32_e32 v2, 31, v1
	v_lshlrev_b64 v[7:8], 3, v[1:2]
	v_add_nc_u32_e32 v2, s3, v9
	v_add_co_u32 v7, vcc_lo, s8, v7
	v_add_co_ci_u32_e64 v8, null, s21, v8, vcc_lo
.LBB23_36:                              ;   Parent Loop BB23_4 Depth=1
                                        ;     Parent Loop BB23_34 Depth=2
                                        ; =>    This Inner Loop Header: Depth=3
	v_add_nc_u32_e32 v11, s30, v11
	s_waitcnt vmcnt(0)
	global_store_dwordx2 v[7:8], v[3:4], off
	v_add_co_u32 v7, s1, v7, s12
	v_add_co_ci_u32_e64 v8, null, s13, v8, s1
	v_cmp_ge_i32_e32 vcc_lo, v11, v2
	s_or_b32 s25, vcc_lo, s25
	s_andn2_b32 exec_lo, exec_lo, s25
	s_cbranch_execnz .LBB23_36
; %bb.37:                               ;   in Loop: Header=BB23_34 Depth=2
	s_or_b32 exec_lo, exec_lo, s25
	s_branch .LBB23_33
.LBB23_38:                              ;   in Loop: Header=BB23_4 Depth=1
	s_inst_prefetch 0x2
	s_or_b32 exec_lo, exec_lo, s2
	v_cmp_gt_i32_e32 vcc_lo, s80, v0
	s_and_saveexec_b32 s3, vcc_lo
	s_cbranch_execz .LBB23_41
; %bb.39:                               ;   in Loop: Header=BB23_4 Depth=1
	v_lshlrev_b32_e32 v1, 3, v0
	s_lshl_b64 s[24:25], s[22:23], 3
	v_mov_b32_e32 v3, v0
	s_lshl_b32 s7, s11, 3
	s_mov_b32 s8, 0
	v_add_co_u32 v1, s1, v1, s24
	v_add_co_ci_u32_e64 v2, null, 0, s25, s1
	.p2align	6
.LBB23_40:                              ;   Parent Loop BB23_4 Depth=1
                                        ; =>  This Inner Loop Header: Depth=2
	v_add_co_u32 v7, s1, s50, v1
	v_add_co_ci_u32_e64 v8, null, s51, v2, s1
	v_add_nc_u32_e32 v3, s11, v3
	v_add_co_u32 v11, s1, s61, v1
	global_load_dwordx2 v[7:8], v[7:8], off
	v_add_co_ci_u32_e64 v12, null, s62, v2, s1
	v_cmp_le_i32_e64 s1, s80, v3
	v_add_co_u32 v1, s2, v1, s7
	v_add_co_ci_u32_e64 v2, null, 0, v2, s2
	s_or_b32 s8, s1, s8
	s_waitcnt vmcnt(0)
	global_store_dwordx2 v[11:12], v[7:8], off
	s_andn2_b32 exec_lo, exec_lo, s8
	s_cbranch_execnz .LBB23_40
.LBB23_41:                              ;   in Loop: Header=BB23_4 Depth=1
	s_or_b32 exec_lo, exec_lo, s3
	s_lshl_b64 s[36:37], s[22:23], 3
	s_waitcnt_vscnt null, 0x0
	s_add_u32 s24, s29, s36
	s_addc_u32 s25, s60, s37
	s_barrier
	buffer_gl0_inv
	s_and_saveexec_b32 s84, vcc_lo
	s_cbranch_execz .LBB23_242
; %bb.42:                               ;   in Loop: Header=BB23_4 Depth=1
	v_add_f64 v[11:12], v[5:6], v[5:6]
	s_add_u32 s85, s61, s36
	s_addc_u32 s86, s62, s37
	s_lshl_b64 s[2:3], s[22:23], 2
	v_mov_b32_e32 v19, v64
	s_add_u32 s87, s56, s2
	s_addc_u32 s88, s57, s3
	s_cmp_lt_i32 s20, 1
	v_mov_b32_e32 v9, v0
	s_cselect_b32 s89, -1, 0
	s_add_i32 s38, s20, -1
	s_add_i32 s90, s20, -2
	s_cmp_gt_u32 s20, 2
	s_mov_b32 s96, 0
	s_cselect_b32 s91, -1, 0
	s_ashr_i32 s21, s20, 31
	s_lshl_b64 s[40:41], s[20:21], 3
	s_add_u32 s42, s24, s40
	s_addc_u32 s43, s25, s41
	s_cmp_gt_u32 s20, 1
	v_cmp_gt_f64_e64 s1, 0, v[11:12]
	v_xor_b32_e32 v1, 0x80000000, v12
	s_cselect_b32 s21, -1, 0
	s_add_u32 s92, s78, s4
	s_addc_u32 s93, s79, s5
	s_ashr_i32 s39, s38, 31
	s_lshl_b64 s[2:3], s[38:39], 3
	s_mul_i32 s39, s30, s11
	s_add_u32 s4, s4, s2
	s_addc_u32 s5, s5, s3
	s_add_u32 s94, s78, s4
	s_addc_u32 s95, s79, s5
	;; [unrolled: 2-line block ×4, first 2 shown]
	v_cndmask_b32_e64 v12, v12, v1, s1
	v_div_scale_f64 v[1:2], null, v[11:12], v[11:12], 1.0
	v_div_scale_f64 v[7:8], vcc_lo, 1.0, v[11:12], 1.0
	v_mul_f64 v[15:16], v[11:12], 0.5
	v_rcp_f64_e32 v[3:4], v[1:2]
	v_fma_f64 v[5:6], -v[1:2], v[3:4], 1.0
	v_fma_f64 v[3:4], v[3:4], v[5:6], v[3:4]
	v_fma_f64 v[5:6], -v[1:2], v[3:4], 1.0
	v_fma_f64 v[3:4], v[3:4], v[5:6], v[3:4]
	v_mul_f64 v[5:6], v[7:8], v[3:4]
	v_fma_f64 v[1:2], -v[1:2], v[5:6], v[7:8]
	v_div_fmas_f64 v[1:2], v[1:2], v[3:4], v[5:6]
	v_div_fixup_f64 v[13:14], v[1:2], v[11:12], 1.0
	v_add_f64 v[17:18], v[13:14], v[13:14]
	s_branch .LBB23_44
.LBB23_43:                              ;   in Loop: Header=BB23_44 Depth=2
	s_or_b32 exec_lo, exec_lo, s97
	v_add_nc_u32_e32 v9, s11, v9
	v_add_nc_u32_e32 v19, s39, v19
	v_cmp_le_i32_e32 vcc_lo, s80, v9
	s_or_b32 s96, vcc_lo, s96
	s_andn2_b32 exec_lo, exec_lo, s96
	s_cbranch_execz .LBB23_242
.LBB23_44:                              ;   Parent Loop BB23_4 Depth=1
                                        ; =>  This Loop Header: Depth=2
                                        ;       Child Loop BB23_49 Depth 3
                                        ;       Child Loop BB23_56 Depth 3
	;; [unrolled: 1-line block ×10, first 2 shown]
                                        ;         Child Loop BB23_166 Depth 4
                                        ;         Child Loop BB23_170 Depth 4
                                        ;       Child Loop BB23_176 Depth 3
                                        ;       Child Loop BB23_192 Depth 3
	;; [unrolled: 1-line block ×5, first 2 shown]
                                        ;         Child Loop BB23_236 Depth 4
	v_lshlrev_b64 v[1:2], 2, v[9:10]
	s_mov_b32 s97, exec_lo
	v_add_co_u32 v1, vcc_lo, s87, v1
	v_add_co_ci_u32_e64 v2, null, s88, v2, vcc_lo
	global_load_dword v1, v[1:2], off offset:8
	s_waitcnt vmcnt(0)
	v_cmpx_eq_u32_e32 1, v1
	s_cbranch_execz .LBB23_43
; %bb.45:                               ;   in Loop: Header=BB23_44 Depth=2
	v_mul_lo_u32 v3, v9, s30
	s_andn2_b32 vcc_lo, exec_lo, s89
	s_mov_b32 s2, -1
                                        ; implicit-def: $vgpr1
	s_cbranch_vccnz .LBB23_47
; %bb.46:                               ;   in Loop: Header=BB23_44 Depth=2
	v_mul_lo_u32 v1, v9, s30
	s_mov_b32 s2, 0
.LBB23_47:                              ;   in Loop: Header=BB23_44 Depth=2
	v_lshlrev_b64 v[4:5], 3, v[9:10]
	v_mov_b32_e32 v7, 0
	v_add_co_u32 v21, vcc_lo, s85, v4
	v_add_co_ci_u32_e64 v22, null, s86, v5, vcc_lo
	s_andn2_b32 vcc_lo, exec_lo, s2
	s_cbranch_vccnz .LBB23_51
; %bb.48:                               ;   in Loop: Header=BB23_44 Depth=2
	global_load_dwordx2 v[1:2], v[21:22], off
	v_mov_b32_e32 v7, 0
	s_mov_b32 s3, 0
	s_waitcnt vmcnt(0)
	v_xor_b32_e32 v4, 0x80000000, v2
	v_cndmask_b32_e64 v2, v2, v4, s1
	v_mov_b32_e32 v4, s20
	.p2align	6
.LBB23_49:                              ;   Parent Loop BB23_4 Depth=1
                                        ;     Parent Loop BB23_44 Depth=2
                                        ; =>    This Inner Loop Header: Depth=3
	v_lshrrev_b32_e32 v8, 1, v4
	v_add_nc_u32_e32 v20, v7, v8
	v_xad_u32 v4, v8, -1, v4
	v_add_nc_u32_e32 v5, v20, v3
	v_ashrrev_i32_e32 v6, 31, v5
	v_lshlrev_b64 v[5:6], 3, v[5:6]
	v_add_co_u32 v5, vcc_lo, s82, v5
	v_add_co_ci_u32_e64 v6, null, s83, v6, vcc_lo
	global_load_dwordx2 v[5:6], v[5:6], off
	s_waitcnt vmcnt(0)
	v_cmp_lt_f64_e32 vcc_lo, v[5:6], v[1:2]
	v_add_nc_u32_e32 v5, 1, v20
	v_cndmask_b32_e32 v4, v8, v4, vcc_lo
	v_cndmask_b32_e32 v7, v7, v5, vcc_lo
	v_cmp_gt_i32_e64 s2, 1, v4
	s_or_b32 s3, s2, s3
	s_andn2_b32 exec_lo, exec_lo, s3
	s_cbranch_execnz .LBB23_49
; %bb.50:                               ;   in Loop: Header=BB23_44 Depth=2
	s_or_b32 exec_lo, exec_lo, s3
	v_mov_b32_e32 v1, v3
.LBB23_51:                              ;   in Loop: Header=BB23_44 Depth=2
	v_ashrrev_i32_e32 v20, 31, v19
	v_ashrrev_i32_e32 v2, 31, v1
                                        ; implicit-def: $vgpr5_vgpr6
	v_lshlrev_b64 v[40:41], 3, v[19:20]
	v_lshlrev_b64 v[1:2], 3, v[1:2]
	v_add_co_u32 v23, s2, s92, v40
	v_add_co_ci_u32_e64 v24, null, s93, v41, s2
	v_add_co_u32 v20, s2, s82, v1
	v_add_co_ci_u32_e64 v60, null, s83, v2, s2
	s_mov_b32 s2, exec_lo
	v_cmpx_ne_u32_e64 s38, v7
	s_xor_b32 s98, exec_lo, s2
	s_cbranch_execnz .LBB23_54
; %bb.52:                               ;   in Loop: Header=BB23_44 Depth=2
	s_andn2_saveexec_b32 s5, s98
	s_cbranch_execnz .LBB23_174
.LBB23_53:                              ;   in Loop: Header=BB23_44 Depth=2
	s_or_b32 exec_lo, exec_lo, s5
	global_store_dwordx2 v[21:22], v[5:6], off
	s_and_b32 exec_lo, exec_lo, s1
	s_cbranch_execz .LBB23_43
	s_branch .LBB23_241
.LBB23_54:                              ;   in Loop: Header=BB23_44 Depth=2
	v_mov_b32_e32 v8, v10
	s_mov_b32 s3, exec_lo
	v_lshlrev_b64 v[27:28], 3, v[7:8]
	v_add_co_u32 v25, vcc_lo, v20, v27
	v_add_co_ci_u32_e64 v26, null, v60, v28, vcc_lo
	global_load_dwordx4 v[1:4], v[25:26], off
	s_waitcnt vmcnt(0)
	v_add_f64 v[5:6], v[1:2], v[3:4]
	v_mul_f64 v[29:30], v[5:6], 0.5
	v_mov_b32_e32 v5, 0
	v_mov_b32_e32 v6, 0
	v_cmpx_ne_u32_e32 0, v7
	s_cbranch_execz .LBB23_58
; %bb.55:                               ;   in Loop: Header=BB23_44 Depth=2
	v_mov_b32_e32 v5, 0
	v_mov_b32_e32 v32, v24
	;; [unrolled: 1-line block ×5, first 2 shown]
	s_mov_b32 s7, 0
	s_mov_b64 s[4:5], s[24:25]
	s_inst_prefetch 0x1
	.p2align	6
.LBB23_56:                              ;   Parent Loop BB23_4 Depth=1
                                        ;     Parent Loop BB23_44 Depth=2
                                        ; =>    This Inner Loop Header: Depth=3
	global_load_dwordx2 v[33:34], v[31:32], off
	global_load_dwordx2 v[35:36], v10, s[4:5]
	v_add_nc_u32_e32 v8, -1, v8
	s_add_u32 s4, s4, 8
	s_addc_u32 s5, s5, 0
	v_cmp_eq_u32_e64 s2, 0, v8
	s_or_b32 s7, s2, s7
	s_waitcnt vmcnt(1)
	v_add_f64 v[33:34], v[33:34], -v[29:30]
	s_waitcnt vmcnt(0)
	v_div_scale_f64 v[37:38], null, v[33:34], v[33:34], v[35:36]
	v_div_scale_f64 v[46:47], vcc_lo, v[35:36], v[33:34], v[35:36]
	v_rcp_f64_e32 v[42:43], v[37:38]
	v_fma_f64 v[44:45], -v[37:38], v[42:43], 1.0
	v_fma_f64 v[42:43], v[42:43], v[44:45], v[42:43]
	v_fma_f64 v[44:45], -v[37:38], v[42:43], 1.0
	v_fma_f64 v[42:43], v[42:43], v[44:45], v[42:43]
	v_mul_f64 v[44:45], v[46:47], v[42:43]
	v_fma_f64 v[37:38], -v[37:38], v[44:45], v[46:47]
	v_div_fmas_f64 v[37:38], v[37:38], v[42:43], v[44:45]
	v_add_co_u32 v31, vcc_lo, v31, 8
	v_add_co_ci_u32_e64 v32, null, 0, v32, vcc_lo
	v_div_fixup_f64 v[33:34], v[37:38], v[33:34], v[35:36]
	v_fma_f64 v[5:6], v[35:36], v[33:34], v[5:6]
	s_andn2_b32 exec_lo, exec_lo, s7
	s_cbranch_execnz .LBB23_56
; %bb.57:                               ;   in Loop: Header=BB23_44 Depth=2
	s_inst_prefetch 0x2
	s_or_b32 exec_lo, exec_lo, s7
.LBB23_58:                              ;   in Loop: Header=BB23_44 Depth=2
	s_or_b32 exec_lo, exec_lo, s3
	v_mov_b32_e32 v32, v4
	v_mov_b32_e32 v34, 0
	;; [unrolled: 1-line block ×3, first 2 shown]
	v_add_nc_u32_e32 v33, 1, v7
	v_mov_b32_e32 v35, 0
	s_mov_b32 s2, exec_lo
	v_cmpx_gt_i32_e64 s38, v33
	s_cbranch_execz .LBB23_62
; %bb.59:                               ;   in Loop: Header=BB23_44 Depth=2
	v_mov_b32_e32 v34, 0
	v_mov_b32_e32 v35, 0
	s_mov_b32 s3, 0
	s_mov_b32 s8, s38
	s_inst_prefetch 0x1
	.p2align	6
.LBB23_60:                              ;   Parent Loop BB23_4 Depth=1
                                        ;     Parent Loop BB23_44 Depth=2
                                        ; =>    This Inner Loop Header: Depth=3
	s_lshl_b64 s[4:5], s[8:9], 3
	v_add_co_u32 v36, vcc_lo, v20, s4
	v_add_co_ci_u32_e64 v37, null, s5, v60, vcc_lo
	s_add_u32 s4, s24, s4
	s_addc_u32 s5, s25, s5
	s_add_i32 s8, s8, -1
	global_load_dwordx2 v[36:37], v[36:37], off
	global_load_dwordx2 v[38:39], v10, s[4:5]
	s_waitcnt vmcnt(1)
	v_add_f64 v[36:37], v[36:37], -v[29:30]
	s_waitcnt vmcnt(0)
	v_div_scale_f64 v[42:43], null, v[36:37], v[36:37], v[38:39]
	v_div_scale_f64 v[48:49], vcc_lo, v[38:39], v[36:37], v[38:39]
	v_rcp_f64_e32 v[44:45], v[42:43]
	v_fma_f64 v[46:47], -v[42:43], v[44:45], 1.0
	v_fma_f64 v[44:45], v[44:45], v[46:47], v[44:45]
	v_fma_f64 v[46:47], -v[42:43], v[44:45], 1.0
	v_fma_f64 v[44:45], v[44:45], v[46:47], v[44:45]
	v_mul_f64 v[46:47], v[48:49], v[44:45]
	v_fma_f64 v[42:43], -v[42:43], v[46:47], v[48:49]
	v_div_fmas_f64 v[42:43], v[42:43], v[44:45], v[46:47]
	v_cmp_le_u32_e32 vcc_lo, s8, v33
	s_or_b32 s3, vcc_lo, s3
	v_div_fixup_f64 v[36:37], v[42:43], v[36:37], v[38:39]
	v_fma_f64 v[34:35], v[38:39], v[36:37], v[34:35]
	s_andn2_b32 exec_lo, exec_lo, s3
	s_cbranch_execnz .LBB23_60
; %bb.61:                               ;   in Loop: Header=BB23_44 Depth=2
	s_inst_prefetch 0x2
	s_or_b32 exec_lo, exec_lo, s3
.LBB23_62:                              ;   in Loop: Header=BB23_44 Depth=2
	s_or_b32 exec_lo, exec_lo, s2
	v_add_co_u32 v27, vcc_lo, s24, v27
	v_add_co_ci_u32_e64 v28, null, s25, v28, vcc_lo
	v_add_f64 v[29:30], v[3:4], -v[1:2]
	v_add_f64 v[5:6], v[13:14], v[5:6]
	global_load_dwordx4 v[36:39], v[27:28], off
	v_add_f64 v[34:35], v[5:6], v[34:35]
	s_waitcnt vmcnt(0)
	v_mul_f64 v[36:37], v[36:37], v[36:37]
	v_fma_f64 v[42:43], v[38:39], v[38:39], -v[36:37]
	v_mul_f64 v[38:39], v[38:39], v[38:39]
	v_add_f64 v[42:43], v[42:43], v[42:43]
	v_div_scale_f64 v[44:45], null, v[29:30], v[29:30], v[42:43]
	v_div_scale_f64 v[50:51], vcc_lo, v[42:43], v[29:30], v[42:43]
	v_rcp_f64_e32 v[46:47], v[44:45]
	v_fma_f64 v[48:49], -v[44:45], v[46:47], 1.0
	v_fma_f64 v[46:47], v[46:47], v[48:49], v[46:47]
	v_fma_f64 v[48:49], -v[44:45], v[46:47], 1.0
	v_fma_f64 v[46:47], v[46:47], v[48:49], v[46:47]
	v_mul_f64 v[48:49], v[50:51], v[46:47]
	v_fma_f64 v[44:45], -v[44:45], v[48:49], v[50:51]
	v_div_fmas_f64 v[44:45], v[44:45], v[46:47], v[48:49]
	v_mul_f64 v[48:49], v[29:30], v[34:35]
	v_div_fixup_f64 v[5:6], v[44:45], v[29:30], v[42:43]
                                        ; implicit-def: $vgpr42_vgpr43
                                        ; implicit-def: $vgpr44_vgpr45
	v_add_f64 v[5:6], v[34:35], v[5:6]
	v_cmp_lt_f64_e64 s5, 0, v[5:6]
	v_cmp_nlt_f64_e64 s2, 0, v[5:6]
                                        ; implicit-def: $vgpr5_vgpr6
	s_and_saveexec_b32 s3, s2
	s_xor_b32 s4, exec_lo, s3
	s_cbranch_execz .LBB23_68
; %bb.63:                               ;   in Loop: Header=BB23_44 Depth=2
	v_mul_f64 v[5:6], v[29:30], v[38:39]
	v_add_f64 v[7:8], v[48:49], -v[36:37]
	v_mul_f64 v[36:37], v[5:6], 4.0
	v_add_f64 v[7:8], v[7:8], -v[38:39]
	v_mul_f64 v[36:37], v[34:35], v[36:37]
	v_fma_f64 v[36:37], v[7:8], v[7:8], v[36:37]
	v_cmp_gt_f64_e64 s3, 0x10000000, |v[36:37]|
	v_cndmask_b32_e64 v38, 0, 0x100, s3
	v_ldexp_f64 v[36:37], |v[36:37]|, v38
	v_rsq_f64_e32 v[38:39], v[36:37]
	v_cmp_class_f64_e64 vcc_lo, v[36:37], 0x260
	v_mul_f64 v[42:43], v[36:37], v[38:39]
	v_mul_f64 v[38:39], v[38:39], 0.5
	v_fma_f64 v[44:45], -v[38:39], v[42:43], 0.5
	v_fma_f64 v[42:43], v[42:43], v[44:45], v[42:43]
	v_fma_f64 v[38:39], v[38:39], v[44:45], v[38:39]
	v_fma_f64 v[44:45], -v[42:43], v[42:43], v[36:37]
	v_fma_f64 v[42:43], v[44:45], v[38:39], v[42:43]
	v_fma_f64 v[44:45], -v[42:43], v[42:43], v[36:37]
	v_fma_f64 v[38:39], v[44:45], v[38:39], v[42:43]
	v_cndmask_b32_e64 v42, 0, 0xffffff80, s3
	v_cmp_ngt_f64_e64 s3, 0, v[7:8]
	v_ldexp_f64 v[38:39], v[38:39], v42
                                        ; implicit-def: $vgpr42_vgpr43
	v_cndmask_b32_e32 v37, v39, v37, vcc_lo
	v_cndmask_b32_e32 v36, v38, v36, vcc_lo
	s_and_saveexec_b32 s7, s3
	s_xor_b32 s3, exec_lo, s7
	s_cbranch_execz .LBB23_65
; %bb.64:                               ;   in Loop: Header=BB23_44 Depth=2
	v_add_f64 v[5:6], v[7:8], v[36:37]
	v_add_f64 v[7:8], v[34:35], v[34:35]
	v_div_scale_f64 v[34:35], null, v[7:8], v[7:8], -v[5:6]
	v_rcp_f64_e32 v[36:37], v[34:35]
	v_fma_f64 v[38:39], -v[34:35], v[36:37], 1.0
	v_fma_f64 v[36:37], v[36:37], v[38:39], v[36:37]
	v_fma_f64 v[38:39], -v[34:35], v[36:37], 1.0
	v_fma_f64 v[36:37], v[36:37], v[38:39], v[36:37]
	v_div_scale_f64 v[38:39], vcc_lo, -v[5:6], v[7:8], -v[5:6]
	v_mul_f64 v[42:43], v[38:39], v[36:37]
	v_fma_f64 v[34:35], -v[34:35], v[42:43], v[38:39]
	v_div_fmas_f64 v[34:35], v[34:35], v[36:37], v[42:43]
                                        ; implicit-def: $vgpr36_vgpr37
	v_div_fixup_f64 v[42:43], v[34:35], v[7:8], -v[5:6]
                                        ; implicit-def: $vgpr5_vgpr6
                                        ; implicit-def: $vgpr7_vgpr8
.LBB23_65:                              ;   in Loop: Header=BB23_44 Depth=2
	s_andn2_saveexec_b32 s3, s3
	s_cbranch_execz .LBB23_67
; %bb.66:                               ;   in Loop: Header=BB23_44 Depth=2
	v_add_f64 v[5:6], v[5:6], v[5:6]
	v_add_f64 v[7:8], v[7:8], -v[36:37]
	v_div_scale_f64 v[34:35], null, v[7:8], v[7:8], v[5:6]
	v_rcp_f64_e32 v[36:37], v[34:35]
	v_fma_f64 v[38:39], -v[34:35], v[36:37], 1.0
	v_fma_f64 v[36:37], v[36:37], v[38:39], v[36:37]
	v_fma_f64 v[38:39], -v[34:35], v[36:37], 1.0
	v_fma_f64 v[36:37], v[36:37], v[38:39], v[36:37]
	v_div_scale_f64 v[38:39], vcc_lo, v[5:6], v[7:8], v[5:6]
	v_mul_f64 v[42:43], v[38:39], v[36:37]
	v_fma_f64 v[34:35], -v[34:35], v[42:43], v[38:39]
	v_div_fmas_f64 v[34:35], v[34:35], v[36:37], v[42:43]
	v_div_fixup_f64 v[42:43], v[34:35], v[7:8], v[5:6]
.LBB23_67:                              ;   in Loop: Header=BB23_44 Depth=2
	s_or_b32 exec_lo, exec_lo, s3
	v_mul_f64 v[44:45], v[29:30], -0.5
	v_add_f64 v[5:6], v[3:4], v[42:43]
                                        ; implicit-def: $vgpr48_vgpr49
                                        ; implicit-def: $vgpr36_vgpr37
                                        ; implicit-def: $vgpr38_vgpr39
                                        ; implicit-def: $vgpr34_vgpr35
                                        ; implicit-def: $vgpr7
.LBB23_68:                              ;   in Loop: Header=BB23_44 Depth=2
	s_or_saveexec_b32 s4, s4
	v_mov_b32_e32 v46, 0
	v_mov_b32_e32 v47, 0
	s_xor_b32 exec_lo, exec_lo, s4
	s_cbranch_execz .LBB23_74
; %bb.69:                               ;   in Loop: Header=BB23_44 Depth=2
	v_mul_f64 v[5:6], v[29:30], v[36:37]
	v_add_f64 v[31:32], v[48:49], v[36:37]
	v_mul_f64 v[36:37], v[5:6], -4.0
	v_add_f64 v[31:32], v[31:32], v[38:39]
	v_mul_f64 v[36:37], v[34:35], v[36:37]
	v_fma_f64 v[36:37], v[31:32], v[31:32], v[36:37]
	v_cmp_gt_f64_e64 s3, 0x10000000, |v[36:37]|
	v_cndmask_b32_e64 v8, 0, 0x100, s3
	v_ldexp_f64 v[36:37], |v[36:37]|, v8
	v_cndmask_b32_e64 v8, 0, 0xffffff80, s3
	v_cmp_nlt_f64_e64 s3, 0, v[31:32]
	v_rsq_f64_e32 v[38:39], v[36:37]
	v_cmp_class_f64_e64 vcc_lo, v[36:37], 0x260
	v_mul_f64 v[42:43], v[36:37], v[38:39]
	v_mul_f64 v[38:39], v[38:39], 0.5
	v_fma_f64 v[44:45], -v[38:39], v[42:43], 0.5
	v_fma_f64 v[42:43], v[42:43], v[44:45], v[42:43]
	v_fma_f64 v[38:39], v[38:39], v[44:45], v[38:39]
	v_fma_f64 v[44:45], -v[42:43], v[42:43], v[36:37]
	v_fma_f64 v[42:43], v[44:45], v[38:39], v[42:43]
	v_fma_f64 v[44:45], -v[42:43], v[42:43], v[36:37]
	v_fma_f64 v[38:39], v[44:45], v[38:39], v[42:43]
                                        ; implicit-def: $vgpr42_vgpr43
	v_ldexp_f64 v[38:39], v[38:39], v8
	v_cndmask_b32_e32 v37, v39, v37, vcc_lo
	v_cndmask_b32_e32 v36, v38, v36, vcc_lo
	s_and_saveexec_b32 s7, s3
	s_xor_b32 s3, exec_lo, s7
	s_cbranch_execz .LBB23_71
; %bb.70:                               ;   in Loop: Header=BB23_44 Depth=2
	v_add_f64 v[5:6], v[31:32], -v[36:37]
	v_add_f64 v[31:32], v[34:35], v[34:35]
	v_div_scale_f64 v[33:34], null, v[31:32], v[31:32], v[5:6]
	v_rcp_f64_e32 v[35:36], v[33:34]
	v_fma_f64 v[37:38], -v[33:34], v[35:36], 1.0
	v_fma_f64 v[35:36], v[35:36], v[37:38], v[35:36]
	v_fma_f64 v[37:38], -v[33:34], v[35:36], 1.0
	v_fma_f64 v[35:36], v[35:36], v[37:38], v[35:36]
	v_div_scale_f64 v[37:38], vcc_lo, v[5:6], v[31:32], v[5:6]
	v_mul_f64 v[42:43], v[37:38], v[35:36]
	v_fma_f64 v[33:34], -v[33:34], v[42:43], v[37:38]
	v_div_fmas_f64 v[33:34], v[33:34], v[35:36], v[42:43]
                                        ; implicit-def: $vgpr36_vgpr37
	v_div_fixup_f64 v[42:43], v[33:34], v[31:32], v[5:6]
                                        ; implicit-def: $vgpr5_vgpr6
                                        ; implicit-def: $vgpr31_vgpr32
.LBB23_71:                              ;   in Loop: Header=BB23_44 Depth=2
	s_andn2_saveexec_b32 s3, s3
	s_cbranch_execz .LBB23_73
; %bb.72:                               ;   in Loop: Header=BB23_44 Depth=2
	v_add_f64 v[5:6], v[5:6], v[5:6]
	v_add_f64 v[31:32], v[31:32], v[36:37]
	v_div_scale_f64 v[33:34], null, v[31:32], v[31:32], v[5:6]
	v_rcp_f64_e32 v[35:36], v[33:34]
	v_fma_f64 v[37:38], -v[33:34], v[35:36], 1.0
	v_fma_f64 v[35:36], v[35:36], v[37:38], v[35:36]
	v_fma_f64 v[37:38], -v[33:34], v[35:36], 1.0
	v_fma_f64 v[35:36], v[35:36], v[37:38], v[35:36]
	v_div_scale_f64 v[37:38], vcc_lo, v[5:6], v[31:32], v[5:6]
	v_mul_f64 v[42:43], v[37:38], v[35:36]
	v_fma_f64 v[33:34], -v[33:34], v[42:43], v[37:38]
	v_div_fmas_f64 v[33:34], v[33:34], v[35:36], v[42:43]
	v_div_fixup_f64 v[42:43], v[33:34], v[31:32], v[5:6]
.LBB23_73:                              ;   in Loop: Header=BB23_44 Depth=2
	s_or_b32 exec_lo, exec_lo, s3
	v_mul_f64 v[46:47], v[29:30], 0.5
	v_add_f64 v[5:6], v[1:2], v[42:43]
	v_mov_b32_e32 v44, 0
	v_mov_b32_e32 v32, v2
	;; [unrolled: 1-line block ×5, first 2 shown]
.LBB23_74:                              ;   in Loop: Header=BB23_44 Depth=2
	s_or_b32 exec_lo, exec_lo, s4
	v_mov_b32_e32 v7, v23
	v_mov_b32_e32 v8, v24
	s_mov_b32 s7, -1
	s_mov_b32 s4, 0
.LBB23_75:                              ;   Parent Loop BB23_4 Depth=1
                                        ;     Parent Loop BB23_44 Depth=2
                                        ; =>    This Inner Loop Header: Depth=3
	global_load_dwordx2 v[34:35], v[7:8], off
	s_add_i32 s7, s7, 1
	v_cmp_eq_u32_e32 vcc_lo, s7, v33
	s_or_b32 s4, vcc_lo, s4
	s_waitcnt vmcnt(0)
	v_add_f64 v[34:35], v[34:35], -v[31:32]
	global_store_dwordx2 v[7:8], v[34:35], off
	v_add_co_u32 v7, s3, v7, 8
	v_add_co_ci_u32_e64 v8, null, 0, v8, s3
	s_andn2_b32 exec_lo, exec_lo, s4
	s_cbranch_execnz .LBB23_75
; %bb.76:                               ;   in Loop: Header=BB23_44 Depth=2
	s_or_b32 exec_lo, exec_lo, s4
	v_cmp_gt_i32_e64 s3, s38, v33
	s_and_saveexec_b32 s4, s3
	s_cbranch_execz .LBB23_79
; %bb.77:                               ;   in Loop: Header=BB23_44 Depth=2
	s_mov_b32 s7, 0
	s_mov_b32 s8, s38
.LBB23_78:                              ;   Parent Loop BB23_4 Depth=1
                                        ;     Parent Loop BB23_44 Depth=2
                                        ; =>    This Inner Loop Header: Depth=3
	s_lshl_b64 s[46:47], s[8:9], 3
	s_add_i32 s8, s8, -1
	v_add_co_u32 v7, vcc_lo, v20, s46
	v_add_co_ci_u32_e64 v8, null, s47, v60, vcc_lo
	v_cmp_le_u32_e32 vcc_lo, s8, v33
	global_load_dwordx2 v[34:35], v[7:8], off
	s_or_b32 s7, vcc_lo, s7
	s_waitcnt vmcnt(0)
	v_add_f64 v[34:35], v[34:35], -v[31:32]
	global_store_dwordx2 v[7:8], v[34:35], off
	s_andn2_b32 exec_lo, exec_lo, s7
	s_cbranch_execnz .LBB23_78
.LBB23_79:                              ;   in Loop: Header=BB23_44 Depth=2
	s_or_b32 exec_lo, exec_lo, s4
	v_mov_b32_e32 v34, v10
	v_mov_b32_e32 v38, 0
	;; [unrolled: 1-line block ×5, first 2 shown]
	v_lshlrev_b64 v[36:37], 3, v[33:34]
	v_cmp_ne_u32_e64 s4, 0, v33
	v_add_co_u32 v34, vcc_lo, v20, v36
	v_add_co_ci_u32_e64 v35, null, v60, v37, vcc_lo
	global_load_dwordx2 v[7:8], v[34:35], off
	s_waitcnt vmcnt(0)
	v_add_f64 v[48:49], v[7:8], -v[42:43]
	v_mov_b32_e32 v7, 0
	v_mov_b32_e32 v8, 0
	global_store_dwordx2 v[34:35], v[48:49], off
	s_and_saveexec_b32 s8, s4
	s_cbranch_execz .LBB23_83
; %bb.80:                               ;   in Loop: Header=BB23_44 Depth=2
	v_mov_b32_e32 v7, 0
	v_mov_b32_e32 v49, v24
	;; [unrolled: 1-line block ×9, first 2 shown]
	s_mov_b32 s31, 0
	s_mov_b64 s[46:47], s[24:25]
	s_inst_prefetch 0x1
	.p2align	6
.LBB23_81:                              ;   Parent Loop BB23_4 Depth=1
                                        ;     Parent Loop BB23_44 Depth=2
                                        ; =>    This Inner Loop Header: Depth=3
	global_load_dwordx2 v[54:55], v[48:49], off
	v_add_nc_u32_e32 v50, -1, v50
	s_waitcnt vmcnt(0)
	v_add_f64 v[54:55], v[54:55], -v[42:43]
	global_store_dwordx2 v[48:49], v[54:55], off
	global_load_dwordx2 v[56:57], v10, s[46:47]
	v_add_co_u32 v48, s7, v48, 8
	v_add_co_ci_u32_e64 v49, null, 0, v49, s7
	s_add_u32 s46, s46, 8
	s_addc_u32 s47, s47, 0
	s_waitcnt vmcnt(0)
	v_div_scale_f64 v[58:59], null, v[54:55], v[54:55], v[56:57]
	v_div_scale_f64 v[69:70], vcc_lo, v[56:57], v[54:55], v[56:57]
	v_rcp_f64_e32 v[65:66], v[58:59]
	v_fma_f64 v[67:68], -v[58:59], v[65:66], 1.0
	v_fma_f64 v[65:66], v[65:66], v[67:68], v[65:66]
	v_fma_f64 v[67:68], -v[58:59], v[65:66], 1.0
	v_fma_f64 v[65:66], v[65:66], v[67:68], v[65:66]
	v_mul_f64 v[67:68], v[69:70], v[65:66]
	v_fma_f64 v[58:59], -v[58:59], v[67:68], v[69:70]
	v_div_fmas_f64 v[58:59], v[58:59], v[65:66], v[67:68]
	v_cmp_eq_u32_e32 vcc_lo, 0, v50
	s_or_b32 s31, vcc_lo, s31
	v_div_fixup_f64 v[54:55], v[58:59], v[54:55], v[56:57]
	v_fma_f64 v[52:53], v[56:57], v[54:55], v[52:53]
	v_fma_f64 v[7:8], v[54:55], v[54:55], v[7:8]
	v_add_f64 v[38:39], v[38:39], v[52:53]
	s_andn2_b32 exec_lo, exec_lo, s31
	s_cbranch_execnz .LBB23_81
; %bb.82:                               ;   in Loop: Header=BB23_44 Depth=2
	s_inst_prefetch 0x2
	s_or_b32 exec_lo, exec_lo, s31
	v_and_b32_e32 v39, 0x7fffffff, v39
.LBB23_83:                              ;   in Loop: Header=BB23_44 Depth=2
	s_or_b32 exec_lo, exec_lo, s8
	v_mov_b32_e32 v50, 0
	v_mov_b32_e32 v56, 0
	;; [unrolled: 1-line block ×4, first 2 shown]
	s_and_saveexec_b32 s7, s3
	s_cbranch_execz .LBB23_87
; %bb.84:                               ;   in Loop: Header=BB23_44 Depth=2
	v_mov_b32_e32 v50, 0
	v_mov_b32_e32 v56, 0
	v_mov_b32_e32 v51, 0
	v_mov_b32_e32 v57, 0
	s_mov_b32 s31, 0
	s_mov_b32 s8, s38
	s_inst_prefetch 0x1
	.p2align	6
.LBB23_85:                              ;   Parent Loop BB23_4 Depth=1
                                        ;     Parent Loop BB23_44 Depth=2
                                        ; =>    This Inner Loop Header: Depth=3
	s_lshl_b64 s[46:47], s[8:9], 3
	v_add_co_u32 v48, vcc_lo, v20, s46
	v_add_co_ci_u32_e64 v49, null, s47, v60, vcc_lo
	s_add_u32 s46, s24, s46
	s_addc_u32 s47, s25, s47
	s_add_i32 s8, s8, -1
	global_load_dwordx2 v[54:55], v[48:49], off
	s_waitcnt vmcnt(0)
	v_add_f64 v[54:55], v[54:55], -v[42:43]
	global_store_dwordx2 v[48:49], v[54:55], off
	global_load_dwordx2 v[48:49], v10, s[46:47]
	s_waitcnt vmcnt(0)
	v_div_scale_f64 v[58:59], null, v[54:55], v[54:55], v[48:49]
	v_div_scale_f64 v[69:70], vcc_lo, v[48:49], v[54:55], v[48:49]
	v_rcp_f64_e32 v[65:66], v[58:59]
	v_fma_f64 v[67:68], -v[58:59], v[65:66], 1.0
	v_fma_f64 v[65:66], v[65:66], v[67:68], v[65:66]
	v_fma_f64 v[67:68], -v[58:59], v[65:66], 1.0
	v_fma_f64 v[65:66], v[65:66], v[67:68], v[65:66]
	v_mul_f64 v[67:68], v[69:70], v[65:66]
	v_fma_f64 v[58:59], -v[58:59], v[67:68], v[69:70]
	v_div_fmas_f64 v[58:59], v[58:59], v[65:66], v[67:68]
	v_cmp_le_u32_e32 vcc_lo, s8, v33
	s_or_b32 s31, vcc_lo, s31
	v_div_fixup_f64 v[54:55], v[58:59], v[54:55], v[48:49]
	v_fma_f64 v[56:57], v[48:49], v[54:55], v[56:57]
	v_fma_f64 v[50:51], v[54:55], v[54:55], v[50:51]
	v_add_f64 v[38:39], v[38:39], v[56:57]
	s_andn2_b32 exec_lo, exec_lo, s31
	s_cbranch_execnz .LBB23_85
; %bb.86:                               ;   in Loop: Header=BB23_44 Depth=2
	s_inst_prefetch 0x2
	s_or_b32 exec_lo, exec_lo, s31
.LBB23_87:                              ;   in Loop: Header=BB23_44 Depth=2
	s_or_b32 exec_lo, exec_lo, s7
	v_add_co_u32 v36, vcc_lo, s24, v36
	v_add_co_ci_u32_e64 v37, null, s25, v37, vcc_lo
	s_mov_b32 s99, exec_lo
	global_load_dwordx2 v[48:49], v[34:35], off
	global_load_dwordx2 v[58:59], v[36:37], off
	s_waitcnt vmcnt(0)
	v_div_scale_f64 v[54:55], null, v[48:49], v[48:49], v[58:59]
	v_div_scale_f64 v[69:70], vcc_lo, v[58:59], v[48:49], v[58:59]
	v_rcp_f64_e32 v[65:66], v[54:55]
	v_fma_f64 v[67:68], -v[54:55], v[65:66], 1.0
	v_fma_f64 v[65:66], v[65:66], v[67:68], v[65:66]
	v_fma_f64 v[67:68], -v[54:55], v[65:66], 1.0
	v_fma_f64 v[65:66], v[65:66], v[67:68], v[65:66]
	v_mul_f64 v[67:68], v[69:70], v[65:66]
	v_fma_f64 v[54:55], -v[54:55], v[67:68], v[69:70]
	v_div_fmas_f64 v[54:55], v[54:55], v[65:66], v[67:68]
	v_add_f64 v[67:68], v[56:57], -v[52:53]
	v_add_f64 v[52:53], v[13:14], v[52:53]
	v_div_fixup_f64 v[65:66], v[54:55], v[48:49], v[58:59]
	v_add_f64 v[54:55], v[7:8], v[50:51]
	v_fma_f64 v[67:68], 0x40200000, v[67:68], v[17:18]
	v_add_f64 v[52:53], v[52:53], v[56:57]
	v_mul_f64 v[7:8], v[58:59], v[65:66]
	v_fma_f64 v[50:51], v[65:66], v[65:66], v[54:55]
	v_fma_f64 v[52:53], v[58:59], v[65:66], v[52:53]
	v_fma_f64 v[7:8], 0x40080000, |v[7:8]|, v[67:68]
	v_fma_f64 v[7:8], |v[42:43]|, v[50:51], v[7:8]
	v_add_f64 v[7:8], v[38:39], v[7:8]
	v_mul_f64 v[7:8], s[26:27], v[7:8]
	v_cmpx_nle_f64_e64 |v[52:53]|, v[7:8]
	s_cbranch_execz .LBB23_173
; %bb.88:                               ;   in Loop: Header=BB23_44 Depth=2
	global_load_dwordx4 v[5:8], v[25:26], off
                                        ; implicit-def: $vgpr58_vgpr59
	s_and_saveexec_b32 s7, s2
	s_xor_b32 s7, exec_lo, s7
	s_cbranch_execz .LBB23_90
; %bb.89:                               ;   in Loop: Header=BB23_44 Depth=2
	global_load_dwordx2 v[38:39], v[27:28], off offset:8
	s_waitcnt vmcnt(0)
	v_mul_f64 v[56:57], v[29:30], v[38:39]
	v_mul_f64 v[38:39], v[38:39], v[56:57]
	v_div_scale_f64 v[56:57], null, v[7:8], v[7:8], v[38:39]
	v_div_scale_f64 v[67:68], vcc_lo, v[38:39], v[7:8], v[38:39]
	v_rcp_f64_e32 v[58:59], v[56:57]
	v_fma_f64 v[65:66], -v[56:57], v[58:59], 1.0
	v_fma_f64 v[58:59], v[58:59], v[65:66], v[58:59]
	v_fma_f64 v[65:66], -v[56:57], v[58:59], 1.0
	v_fma_f64 v[58:59], v[58:59], v[65:66], v[58:59]
	v_mul_f64 v[65:66], v[67:68], v[58:59]
	v_fma_f64 v[56:57], -v[56:57], v[65:66], v[67:68]
	v_div_fmas_f64 v[56:57], v[56:57], v[58:59], v[65:66]
	v_div_fixup_f64 v[38:39], v[56:57], v[7:8], v[38:39]
	v_div_scale_f64 v[56:57], null, v[7:8], v[7:8], v[38:39]
	v_rcp_f64_e32 v[58:59], v[56:57]
	v_fma_f64 v[65:66], -v[56:57], v[58:59], 1.0
	v_fma_f64 v[58:59], v[58:59], v[65:66], v[58:59]
	v_fma_f64 v[65:66], -v[56:57], v[58:59], 1.0
	v_fma_f64 v[58:59], v[58:59], v[65:66], v[58:59]
	v_div_scale_f64 v[65:66], vcc_lo, v[38:39], v[7:8], v[38:39]
	v_mul_f64 v[67:68], v[65:66], v[58:59]
	v_fma_f64 v[56:57], -v[56:57], v[67:68], v[65:66]
	v_div_fmas_f64 v[56:57], v[56:57], v[58:59], v[67:68]
	v_fma_f64 v[58:59], -v[50:51], v[5:6], v[52:53]
	v_div_fixup_f64 v[38:39], v[56:57], v[7:8], v[38:39]
	v_add_f64 v[58:59], v[58:59], -v[38:39]
.LBB23_90:                              ;   in Loop: Header=BB23_44 Depth=2
	s_or_saveexec_b32 s7, s7
	v_add_f64 v[38:39], v[1:2], -v[3:4]
	s_xor_b32 exec_lo, exec_lo, s7
	s_cbranch_execz .LBB23_92
; %bb.91:                               ;   in Loop: Header=BB23_44 Depth=2
	global_load_dwordx2 v[1:2], v[27:28], off
	s_waitcnt vmcnt(0)
	v_mul_f64 v[3:4], v[38:39], v[1:2]
	v_mul_f64 v[1:2], v[1:2], v[3:4]
	v_div_scale_f64 v[3:4], null, v[5:6], v[5:6], v[1:2]
	v_div_scale_f64 v[65:66], vcc_lo, v[1:2], v[5:6], v[1:2]
	v_rcp_f64_e32 v[56:57], v[3:4]
	v_fma_f64 v[58:59], -v[3:4], v[56:57], 1.0
	v_fma_f64 v[56:57], v[56:57], v[58:59], v[56:57]
	v_fma_f64 v[58:59], -v[3:4], v[56:57], 1.0
	v_fma_f64 v[56:57], v[56:57], v[58:59], v[56:57]
	v_mul_f64 v[58:59], v[65:66], v[56:57]
	v_fma_f64 v[3:4], -v[3:4], v[58:59], v[65:66]
	v_div_fmas_f64 v[3:4], v[3:4], v[56:57], v[58:59]
	v_div_fixup_f64 v[1:2], v[3:4], v[5:6], v[1:2]
	v_div_scale_f64 v[3:4], null, v[5:6], v[5:6], v[1:2]
	v_rcp_f64_e32 v[56:57], v[3:4]
	v_fma_f64 v[58:59], -v[3:4], v[56:57], 1.0
	v_fma_f64 v[56:57], v[56:57], v[58:59], v[56:57]
	v_fma_f64 v[58:59], -v[3:4], v[56:57], 1.0
	v_fma_f64 v[56:57], v[56:57], v[58:59], v[56:57]
	v_div_scale_f64 v[58:59], vcc_lo, v[1:2], v[5:6], v[1:2]
	v_mul_f64 v[65:66], v[58:59], v[56:57]
	v_fma_f64 v[3:4], -v[3:4], v[65:66], v[58:59]
	v_div_fmas_f64 v[3:4], v[3:4], v[56:57], v[65:66]
	v_fma_f64 v[56:57], -v[50:51], v[7:8], v[52:53]
	v_div_fixup_f64 v[1:2], v[3:4], v[5:6], v[1:2]
	v_add_f64 v[58:59], v[56:57], -v[1:2]
.LBB23_92:                              ;   in Loop: Header=BB23_44 Depth=2
	s_or_b32 exec_lo, exec_lo, s7
	s_waitcnt vmcnt(0)
	v_mul_f64 v[1:2], v[5:6], v[7:8]
	v_add_f64 v[56:57], v[5:6], v[7:8]
	s_mov_b32 s7, exec_lo
	v_mul_f64 v[65:66], v[50:51], v[1:2]
	v_mul_f64 v[3:4], v[52:53], v[1:2]
                                        ; implicit-def: $vgpr1_vgpr2
	v_fma_f64 v[56:57], v[52:53], v[56:57], -v[65:66]
	v_cmpx_neq_f64_e32 0, v[58:59]
	s_xor_b32 s8, exec_lo, s7
	s_cbranch_execz .LBB23_98
; %bb.93:                               ;   in Loop: Header=BB23_44 Depth=2
	v_mul_f64 v[1:2], v[3:4], -4.0
	v_mul_f64 v[1:2], v[1:2], v[58:59]
	v_fma_f64 v[1:2], v[56:57], v[56:57], v[1:2]
	v_cmp_gt_f64_e64 s7, 0x10000000, |v[1:2]|
	v_cndmask_b32_e64 v5, 0, 0x100, s7
	v_ldexp_f64 v[1:2], |v[1:2]|, v5
	v_rsq_f64_e32 v[5:6], v[1:2]
	v_cmp_class_f64_e64 vcc_lo, v[1:2], 0x260
	v_mul_f64 v[7:8], v[1:2], v[5:6]
	v_mul_f64 v[5:6], v[5:6], 0.5
	v_fma_f64 v[54:55], -v[5:6], v[7:8], 0.5
	v_fma_f64 v[7:8], v[7:8], v[54:55], v[7:8]
	v_fma_f64 v[5:6], v[5:6], v[54:55], v[5:6]
	v_fma_f64 v[54:55], -v[7:8], v[7:8], v[1:2]
	v_fma_f64 v[7:8], v[54:55], v[5:6], v[7:8]
	v_fma_f64 v[54:55], -v[7:8], v[7:8], v[1:2]
	v_fma_f64 v[5:6], v[54:55], v[5:6], v[7:8]
	v_cndmask_b32_e64 v7, 0, 0xffffff80, s7
	v_cmp_ge_f64_e64 s7, 0, v[56:57]
	v_ldexp_f64 v[5:6], v[5:6], v7
	v_cndmask_b32_e32 v6, v6, v2, vcc_lo
	v_cndmask_b32_e32 v5, v5, v1, vcc_lo
                                        ; implicit-def: $vgpr1_vgpr2
	s_and_saveexec_b32 s31, s7
	s_xor_b32 s7, exec_lo, s31
	s_cbranch_execz .LBB23_95
; %bb.94:                               ;   in Loop: Header=BB23_44 Depth=2
	v_add_f64 v[1:2], v[56:57], -v[5:6]
	v_add_f64 v[3:4], v[58:59], v[58:59]
	v_div_scale_f64 v[5:6], null, v[3:4], v[3:4], v[1:2]
	v_rcp_f64_e32 v[7:8], v[5:6]
	v_fma_f64 v[54:55], -v[5:6], v[7:8], 1.0
	v_fma_f64 v[7:8], v[7:8], v[54:55], v[7:8]
	v_fma_f64 v[54:55], -v[5:6], v[7:8], 1.0
	v_fma_f64 v[7:8], v[7:8], v[54:55], v[7:8]
	v_div_scale_f64 v[54:55], vcc_lo, v[1:2], v[3:4], v[1:2]
	v_mul_f64 v[56:57], v[54:55], v[7:8]
	v_fma_f64 v[5:6], -v[5:6], v[56:57], v[54:55]
	v_div_fmas_f64 v[5:6], v[5:6], v[7:8], v[56:57]
                                        ; implicit-def: $vgpr56_vgpr57
	v_div_fixup_f64 v[1:2], v[5:6], v[3:4], v[1:2]
                                        ; implicit-def: $vgpr3_vgpr4
                                        ; implicit-def: $vgpr5_vgpr6
.LBB23_95:                              ;   in Loop: Header=BB23_44 Depth=2
	s_andn2_saveexec_b32 s7, s7
	s_cbranch_execz .LBB23_97
; %bb.96:                               ;   in Loop: Header=BB23_44 Depth=2
	v_add_f64 v[1:2], v[3:4], v[3:4]
	v_add_f64 v[3:4], v[56:57], v[5:6]
	v_div_scale_f64 v[5:6], null, v[3:4], v[3:4], v[1:2]
	v_rcp_f64_e32 v[7:8], v[5:6]
	v_fma_f64 v[54:55], -v[5:6], v[7:8], 1.0
	v_fma_f64 v[7:8], v[7:8], v[54:55], v[7:8]
	v_fma_f64 v[54:55], -v[5:6], v[7:8], 1.0
	v_fma_f64 v[7:8], v[7:8], v[54:55], v[7:8]
	v_div_scale_f64 v[54:55], vcc_lo, v[1:2], v[3:4], v[1:2]
	v_mul_f64 v[56:57], v[54:55], v[7:8]
	v_fma_f64 v[5:6], -v[5:6], v[56:57], v[54:55]
	v_div_fmas_f64 v[5:6], v[5:6], v[7:8], v[56:57]
	v_div_fixup_f64 v[1:2], v[5:6], v[3:4], v[1:2]
.LBB23_97:                              ;   in Loop: Header=BB23_44 Depth=2
	s_or_b32 exec_lo, exec_lo, s7
                                        ; implicit-def: $vgpr56_vgpr57
                                        ; implicit-def: $vgpr3_vgpr4
                                        ; implicit-def: $vgpr7_vgpr8
                                        ; implicit-def: $vgpr54_vgpr55
.LBB23_98:                              ;   in Loop: Header=BB23_44 Depth=2
	s_andn2_saveexec_b32 s7, s8
	s_cbranch_execz .LBB23_106
; %bb.99:                               ;   in Loop: Header=BB23_44 Depth=2
	s_mov_b32 s8, exec_lo
	v_cmpx_eq_f64_e32 0, v[56:57]
	s_cbranch_execz .LBB23_105
; %bb.100:                              ;   in Loop: Header=BB23_44 Depth=2
                                        ; implicit-def: $vgpr56_vgpr57
	s_and_saveexec_b32 s31, s2
	s_xor_b32 s31, exec_lo, s31
	s_cbranch_execz .LBB23_102
; %bb.101:                              ;   in Loop: Header=BB23_44 Depth=2
	global_load_dwordx2 v[1:2], v[27:28], off offset:8
	v_mul_f64 v[5:6], v[5:6], v[5:6]
                                        ; implicit-def: $vgpr7_vgpr8
	s_waitcnt vmcnt(0)
	v_mul_f64 v[1:2], v[1:2], v[1:2]
	v_fma_f64 v[56:57], v[54:55], v[5:6], v[1:2]
                                        ; implicit-def: $vgpr54_vgpr55
.LBB23_102:                             ;   in Loop: Header=BB23_44 Depth=2
	s_andn2_saveexec_b32 s31, s31
	s_cbranch_execz .LBB23_104
; %bb.103:                              ;   in Loop: Header=BB23_44 Depth=2
	global_load_dwordx2 v[1:2], v[27:28], off
	v_mul_f64 v[5:6], v[7:8], v[7:8]
	s_waitcnt vmcnt(0)
	v_mul_f64 v[1:2], v[1:2], v[1:2]
	v_fma_f64 v[56:57], v[54:55], v[5:6], v[1:2]
.LBB23_104:                             ;   in Loop: Header=BB23_44 Depth=2
	s_or_b32 exec_lo, exec_lo, s31
.LBB23_105:                             ;   in Loop: Header=BB23_44 Depth=2
	s_or_b32 exec_lo, exec_lo, s8
	v_div_scale_f64 v[1:2], null, v[56:57], v[56:57], v[3:4]
	v_rcp_f64_e32 v[5:6], v[1:2]
	v_fma_f64 v[7:8], -v[1:2], v[5:6], 1.0
	v_fma_f64 v[5:6], v[5:6], v[7:8], v[5:6]
	v_fma_f64 v[7:8], -v[1:2], v[5:6], 1.0
	v_fma_f64 v[5:6], v[5:6], v[7:8], v[5:6]
	v_div_scale_f64 v[7:8], vcc_lo, v[3:4], v[56:57], v[3:4]
	v_mul_f64 v[54:55], v[7:8], v[5:6]
	v_fma_f64 v[1:2], -v[1:2], v[54:55], v[7:8]
	v_div_fmas_f64 v[1:2], v[1:2], v[5:6], v[54:55]
	v_div_fixup_f64 v[1:2], v[1:2], v[56:57], v[3:4]
.LBB23_106:                             ;   in Loop: Header=BB23_44 Depth=2
	s_or_b32 exec_lo, exec_lo, s7
	v_mul_f64 v[3:4], v[52:53], v[1:2]
	s_mov_b32 s7, exec_lo
	v_cmpx_le_f64_e32 0, v[3:4]
	s_cbranch_execz .LBB23_108
; %bb.107:                              ;   in Loop: Header=BB23_44 Depth=2
	v_div_scale_f64 v[1:2], null, v[50:51], v[50:51], -v[52:53]
	v_rcp_f64_e32 v[3:4], v[1:2]
	v_fma_f64 v[5:6], -v[1:2], v[3:4], 1.0
	v_fma_f64 v[3:4], v[3:4], v[5:6], v[3:4]
	v_fma_f64 v[5:6], -v[1:2], v[3:4], 1.0
	v_fma_f64 v[3:4], v[3:4], v[5:6], v[3:4]
	v_div_scale_f64 v[5:6], vcc_lo, -v[52:53], v[50:51], -v[52:53]
	v_mul_f64 v[7:8], v[5:6], v[3:4]
	v_fma_f64 v[1:2], -v[1:2], v[7:8], v[5:6]
	v_div_fmas_f64 v[1:2], v[1:2], v[3:4], v[7:8]
	v_div_fixup_f64 v[1:2], v[1:2], v[50:51], -v[52:53]
.LBB23_108:                             ;   in Loop: Header=BB23_44 Depth=2
	s_or_b32 exec_lo, exec_lo, s7
	v_cmp_lt_f64_e32 vcc_lo, v[44:45], v[42:43]
	v_cmp_lt_f64_e64 s7, 0, v[52:53]
	v_cmp_lt_f64_e64 s8, v[42:43], v[46:47]
	v_add_f64 v[3:4], v[42:43], v[1:2]
	v_cndmask_b32_e32 v5, v44, v42, vcc_lo
	v_cndmask_b32_e32 v6, v45, v43, vcc_lo
	v_cmp_nge_f64_e32 vcc_lo, 0, v[52:53]
	s_and_b32 s7, s7, s8
	v_cndmask_b32_e64 v8, v47, v43, s7
	v_cndmask_b32_e64 v7, v46, v42, s7
	v_cndmask_b32_e32 v6, v6, v45, vcc_lo
	v_cndmask_b32_e32 v5, v5, v44, vcc_lo
	v_cmp_gt_f64_e32 vcc_lo, v[3:4], v[7:8]
	v_cmp_lt_f64_e64 s7, v[3:4], v[5:6]
	s_or_b32 s8, vcc_lo, s7
	s_and_saveexec_b32 s7, s8
	s_cbranch_execz .LBB23_114
; %bb.109:                              ;   in Loop: Header=BB23_44 Depth=2
	s_mov_b32 s8, exec_lo
                                        ; implicit-def: $vgpr1_vgpr2
	v_cmpx_ngt_f64_e32 0, v[52:53]
	s_xor_b32 s8, exec_lo, s8
	s_cbranch_execz .LBB23_111
; %bb.110:                              ;   in Loop: Header=BB23_44 Depth=2
	v_add_f64 v[1:2], v[5:6], -v[42:43]
	v_mul_f64 v[1:2], v[1:2], 0.5
.LBB23_111:                             ;   in Loop: Header=BB23_44 Depth=2
	s_andn2_saveexec_b32 s8, s8
	s_cbranch_execz .LBB23_113
; %bb.112:                              ;   in Loop: Header=BB23_44 Depth=2
	v_add_f64 v[1:2], v[7:8], -v[42:43]
	v_mul_f64 v[1:2], v[1:2], 0.5
.LBB23_113:                             ;   in Loop: Header=BB23_44 Depth=2
	s_or_b32 exec_lo, exec_lo, s8
.LBB23_114:                             ;   in Loop: Header=BB23_44 Depth=2
	s_or_b32 exec_lo, exec_lo, s7
	v_add_f64 v[48:49], v[48:49], -v[1:2]
	v_mov_b32_e32 v44, 0
	v_mov_b32_e32 v3, 0
	;; [unrolled: 1-line block ×6, first 2 shown]
	global_store_dwordx2 v[34:35], v[48:49], off
	s_and_saveexec_b32 s8, s4
	s_cbranch_execz .LBB23_118
; %bb.115:                              ;   in Loop: Header=BB23_44 Depth=2
	v_mov_b32_e32 v44, 0
	v_mov_b32_e32 v49, v24
	;; [unrolled: 1-line block ×9, first 2 shown]
	s_mov_b32 s31, 0
	s_mov_b64 s[46:47], s[24:25]
	s_inst_prefetch 0x1
	.p2align	6
.LBB23_116:                             ;   Parent Loop BB23_4 Depth=1
                                        ;     Parent Loop BB23_44 Depth=2
                                        ; =>    This Inner Loop Header: Depth=3
	global_load_dwordx2 v[54:55], v[48:49], off
	v_add_nc_u32_e32 v50, -1, v50
	s_waitcnt vmcnt(0)
	v_add_f64 v[54:55], v[54:55], -v[1:2]
	global_store_dwordx2 v[48:49], v[54:55], off
	global_load_dwordx2 v[56:57], v10, s[46:47]
	v_add_co_u32 v48, s7, v48, 8
	v_add_co_ci_u32_e64 v49, null, 0, v49, s7
	s_add_u32 s46, s46, 8
	s_addc_u32 s47, s47, 0
	s_waitcnt vmcnt(0)
	v_div_scale_f64 v[58:59], null, v[54:55], v[54:55], v[56:57]
	v_div_scale_f64 v[69:70], vcc_lo, v[56:57], v[54:55], v[56:57]
	v_rcp_f64_e32 v[65:66], v[58:59]
	v_fma_f64 v[67:68], -v[58:59], v[65:66], 1.0
	v_fma_f64 v[65:66], v[65:66], v[67:68], v[65:66]
	v_fma_f64 v[67:68], -v[58:59], v[65:66], 1.0
	v_fma_f64 v[65:66], v[65:66], v[67:68], v[65:66]
	v_mul_f64 v[67:68], v[69:70], v[65:66]
	v_fma_f64 v[58:59], -v[58:59], v[67:68], v[69:70]
	v_div_fmas_f64 v[58:59], v[58:59], v[65:66], v[67:68]
	v_cmp_eq_u32_e32 vcc_lo, 0, v50
	s_or_b32 s31, vcc_lo, s31
	v_div_fixup_f64 v[54:55], v[58:59], v[54:55], v[56:57]
	v_fma_f64 v[46:47], v[56:57], v[54:55], v[46:47]
	v_fma_f64 v[44:45], v[54:55], v[54:55], v[44:45]
	v_add_f64 v[3:4], v[3:4], v[46:47]
	s_andn2_b32 exec_lo, exec_lo, s31
	s_cbranch_execnz .LBB23_116
; %bb.117:                              ;   in Loop: Header=BB23_44 Depth=2
	s_inst_prefetch 0x2
	s_or_b32 exec_lo, exec_lo, s31
	v_and_b32_e32 v4, 0x7fffffff, v4
.LBB23_118:                             ;   in Loop: Header=BB23_44 Depth=2
	s_or_b32 exec_lo, exec_lo, s8
	v_mov_b32_e32 v50, 0
	v_mov_b32_e32 v54, 0
	;; [unrolled: 1-line block ×4, first 2 shown]
	s_and_saveexec_b32 s7, s3
	s_cbranch_execz .LBB23_122
; %bb.119:                              ;   in Loop: Header=BB23_44 Depth=2
	v_mov_b32_e32 v50, 0
	v_mov_b32_e32 v54, 0
	;; [unrolled: 1-line block ×4, first 2 shown]
	s_mov_b32 s31, 0
	s_mov_b32 s8, s38
	s_inst_prefetch 0x1
	.p2align	6
.LBB23_120:                             ;   Parent Loop BB23_4 Depth=1
                                        ;     Parent Loop BB23_44 Depth=2
                                        ; =>    This Inner Loop Header: Depth=3
	s_lshl_b64 s[46:47], s[8:9], 3
	v_add_co_u32 v48, vcc_lo, v20, s46
	v_add_co_ci_u32_e64 v49, null, s47, v60, vcc_lo
	s_add_u32 s46, s24, s46
	s_addc_u32 s47, s25, s47
	s_add_i32 s8, s8, -1
	global_load_dwordx2 v[56:57], v[48:49], off
	s_waitcnt vmcnt(0)
	v_add_f64 v[56:57], v[56:57], -v[1:2]
	global_store_dwordx2 v[48:49], v[56:57], off
	global_load_dwordx2 v[48:49], v10, s[46:47]
	s_waitcnt vmcnt(0)
	v_div_scale_f64 v[58:59], null, v[56:57], v[56:57], v[48:49]
	v_div_scale_f64 v[69:70], vcc_lo, v[48:49], v[56:57], v[48:49]
	v_rcp_f64_e32 v[65:66], v[58:59]
	v_fma_f64 v[67:68], -v[58:59], v[65:66], 1.0
	v_fma_f64 v[65:66], v[65:66], v[67:68], v[65:66]
	v_fma_f64 v[67:68], -v[58:59], v[65:66], 1.0
	v_fma_f64 v[65:66], v[65:66], v[67:68], v[65:66]
	v_mul_f64 v[67:68], v[69:70], v[65:66]
	v_fma_f64 v[58:59], -v[58:59], v[67:68], v[69:70]
	v_div_fmas_f64 v[58:59], v[58:59], v[65:66], v[67:68]
	v_cmp_le_u32_e32 vcc_lo, s8, v33
	s_or_b32 s31, vcc_lo, s31
	v_div_fixup_f64 v[56:57], v[58:59], v[56:57], v[48:49]
	v_fma_f64 v[54:55], v[48:49], v[56:57], v[54:55]
	v_fma_f64 v[50:51], v[56:57], v[56:57], v[50:51]
	v_add_f64 v[3:4], v[3:4], v[54:55]
	s_andn2_b32 exec_lo, exec_lo, s31
	s_cbranch_execnz .LBB23_120
; %bb.121:                              ;   in Loop: Header=BB23_44 Depth=2
	s_inst_prefetch 0x2
	s_or_b32 exec_lo, exec_lo, s31
.LBB23_122:                             ;   in Loop: Header=BB23_44 Depth=2
	s_or_b32 exec_lo, exec_lo, s7
	global_load_dwordx2 v[58:59], v[36:37], off
	global_load_dwordx2 v[48:49], v[34:35], off
	v_and_b32_e32 v68, 0x7fffffff, v53
	v_mov_b32_e32 v67, v52
	v_add_f64 v[42:43], v[42:43], v[1:2]
	s_mov_b32 s104, 1
	s_mov_b32 s8, 0
                                        ; implicit-def: $vcc_hi
	s_waitcnt vmcnt(0)
	v_div_scale_f64 v[56:57], null, v[48:49], v[48:49], v[58:59]
	v_div_scale_f64 v[73:74], vcc_lo, v[58:59], v[48:49], v[58:59]
	v_rcp_f64_e32 v[60:61], v[56:57]
	v_fma_f64 v[65:66], -v[56:57], v[60:61], 1.0
	v_fma_f64 v[60:61], v[60:61], v[65:66], v[60:61]
	v_div_scale_f64 v[65:66], null, 0x40240000, 0x40240000, v[67:68]
	v_fma_f64 v[69:70], -v[56:57], v[60:61], 1.0
	v_rcp_f64_e32 v[71:72], v[65:66]
	v_fma_f64 v[60:61], v[60:61], v[69:70], v[60:61]
	v_fma_f64 v[69:70], -v[65:66], v[71:72], 1.0
	v_mul_f64 v[75:76], v[73:74], v[60:61]
	v_fma_f64 v[69:70], v[71:72], v[69:70], v[71:72]
	v_fma_f64 v[56:57], -v[56:57], v[75:76], v[73:74]
	v_add_f64 v[73:74], v[44:45], v[50:51]
	v_fma_f64 v[71:72], -v[65:66], v[69:70], 1.0
	v_div_fmas_f64 v[56:57], v[56:57], v[60:61], v[75:76]
	v_div_scale_f64 v[60:61], vcc_lo, v[67:68], 0x40240000, v[67:68]
	v_fma_f64 v[67:68], v[69:70], v[71:72], v[69:70]
	v_add_f64 v[69:70], v[54:55], -v[46:47]
	v_add_f64 v[46:47], v[13:14], v[46:47]
	v_div_fixup_f64 v[56:57], v[56:57], v[48:49], v[58:59]
	v_mul_f64 v[71:72], v[60:61], v[67:68]
	v_fma_f64 v[69:70], 0x40200000, v[69:70], v[17:18]
	v_add_f64 v[46:47], v[46:47], v[54:55]
	v_mul_f64 v[75:76], v[58:59], v[56:57]
	v_fma_f64 v[54:55], v[56:57], v[56:57], v[73:74]
	v_fma_f64 v[60:61], -v[65:66], v[71:72], v[60:61]
	v_fma_f64 v[46:47], v[58:59], v[56:57], v[46:47]
	v_fma_f64 v[1:2], 0x40080000, |v[75:76]|, v[69:70]
	v_div_fmas_f64 v[60:61], v[60:61], v[67:68], v[71:72]
	v_add_co_u32 v40, vcc_lo, s94, v40
	v_xor_b32_e32 v20, 0x80000000, v47
	v_mov_b32_e32 v58, v46
	v_add_co_ci_u32_e64 v41, null, s95, v41, vcc_lo
	v_cndmask_b32_e64 v59, v47, v20, s5
	v_fma_f64 v[1:2], |v[42:43]|, v[54:55], v[1:2]
	v_div_fixup_f64 v[52:53], v[60:61], 0x40240000, |v[52:53]|
	v_add_f64 v[1:2], v[3:4], v[1:2]
	v_cmp_gt_f64_e64 s31, v[58:59], v[52:53]
	s_branch .LBB23_125
.LBB23_123:                             ;   in Loop: Header=BB23_125 Depth=3
	s_or_b32 exec_lo, exec_lo, s7
	global_load_dwordx2 v[58:59], v[36:37], off
	global_load_dwordx2 v[48:49], v[34:35], off
	v_and_b32_e32 v68, 0x7fffffff, v47
	v_mov_b32_e32 v67, v46
	v_add_f64 v[42:43], v[42:43], v[52:53]
	s_add_i32 s104, s104, 1
	v_div_scale_f64 v[69:70], null, 0x40240000, 0x40240000, v[67:68]
	v_div_scale_f64 v[67:68], s5, v[67:68], 0x40240000, v[67:68]
	s_waitcnt vmcnt(0)
	v_div_scale_f64 v[56:57], null, v[48:49], v[48:49], v[58:59]
	v_div_scale_f64 v[75:76], vcc_lo, v[58:59], v[48:49], v[58:59]
	v_rcp_f64_e32 v[60:61], v[56:57]
	v_fma_f64 v[65:66], -v[56:57], v[60:61], 1.0
	v_fma_f64 v[60:61], v[60:61], v[65:66], v[60:61]
	v_rcp_f64_e32 v[65:66], v[69:70]
	v_fma_f64 v[71:72], -v[56:57], v[60:61], 1.0
	v_fma_f64 v[73:74], -v[69:70], v[65:66], 1.0
	v_fma_f64 v[60:61], v[60:61], v[71:72], v[60:61]
	v_fma_f64 v[65:66], v[65:66], v[73:74], v[65:66]
	v_mul_f64 v[71:72], v[75:76], v[60:61]
	v_fma_f64 v[73:74], -v[69:70], v[65:66], 1.0
	v_fma_f64 v[56:57], -v[56:57], v[71:72], v[75:76]
	v_fma_f64 v[65:66], v[65:66], v[73:74], v[65:66]
	v_div_fmas_f64 v[56:57], v[56:57], v[60:61], v[71:72]
	v_add_f64 v[60:61], v[13:14], v[3:4]
	v_add_f64 v[3:4], v[54:55], -v[3:4]
	v_mul_f64 v[71:72], v[67:68], v[65:66]
	s_mov_b32 vcc_lo, s5
	v_div_fixup_f64 v[56:57], v[56:57], v[48:49], v[58:59]
	v_add_f64 v[54:55], v[60:61], v[54:55]
	v_fma_f64 v[3:4], 0x40200000, v[3:4], v[17:18]
	v_fma_f64 v[60:61], -v[69:70], v[71:72], v[67:68]
	v_add_f64 v[67:68], v[44:45], v[50:51]
	v_mul_f64 v[69:70], v[58:59], v[56:57]
	v_fma_f64 v[58:59], v[58:59], v[56:57], v[54:55]
	v_div_fmas_f64 v[60:61], v[60:61], v[65:66], v[71:72]
	v_fma_f64 v[54:55], v[56:57], v[56:57], v[67:68]
	v_fma_f64 v[3:4], 0x40080000, |v[69:70]|, v[3:4]
	v_mul_f64 v[52:53], v[46:47], v[58:59]
	v_div_fixup_f64 v[46:47], v[60:61], 0x40240000, |v[46:47]|
	v_fma_f64 v[3:4], |v[42:43]|, v[54:55], v[3:4]
	v_cmp_lt_f64_e32 vcc_lo, 0, v[52:53]
	v_cmp_gt_f64_e64 s5, |v[58:59]|, v[46:47]
	v_mov_b32_e32 v46, v58
	v_mov_b32_e32 v47, v59
	v_add_f64 v[1:2], v[1:2], v[3:4]
	s_and_b32 s5, vcc_lo, s5
	s_xor_b32 s5, s31, s5
	s_cmp_eq_u32 s104, 50
	s_cselect_b32 s7, -1, 0
	s_andn2_b32 s31, vcc_hi, exec_lo
	s_and_b32 s7, s7, exec_lo
	s_or_b32 vcc_hi, s31, s7
                                        ; implicit-def: $sgpr31
.LBB23_124:                             ;   in Loop: Header=BB23_125 Depth=3
	s_or_b32 exec_lo, exec_lo, s58
	s_and_b32 s7, exec_lo, vcc_hi
	s_or_b32 s8, s7, s8
	s_andn2_b32 s7, s31, exec_lo
	s_and_b32 s5, s5, exec_lo
	s_or_b32 s31, s7, s5
	s_andn2_b32 exec_lo, exec_lo, s8
	s_cbranch_execz .LBB23_172
.LBB23_125:                             ;   Parent Loop BB23_4 Depth=1
                                        ;     Parent Loop BB23_44 Depth=2
                                        ; =>    This Loop Header: Depth=3
                                        ;         Child Loop BB23_166 Depth 4
                                        ;         Child Loop BB23_170 Depth 4
	v_mul_f64 v[1:2], s[26:27], v[1:2]
	s_or_b32 vcc_hi, vcc_hi, exec_lo
                                        ; implicit-def: $sgpr5
	v_cmp_nle_f64_e64 s7, |v[46:47]|, v[1:2]
                                        ; implicit-def: $vgpr1_vgpr2
	s_and_saveexec_b32 s58, s7
	s_cbranch_execz .LBB23_124
; %bb.126:                              ;   in Loop: Header=BB23_125 Depth=3
	global_load_dwordx4 v[1:4], v[25:26], off
	s_xor_b32 s7, s31, -1
                                        ; implicit-def: $vgpr60_vgpr61
	s_and_saveexec_b32 s5, s7
	s_xor_b32 s5, exec_lo, s5
	s_cbranch_execz .LBB23_132
; %bb.127:                              ;   in Loop: Header=BB23_125 Depth=3
	v_mul_f64 v[52:53], v[56:57], v[56:57]
	s_and_saveexec_b32 s46, s2
	s_xor_b32 s46, exec_lo, s46
; %bb.128:                              ;   in Loop: Header=BB23_125 Depth=3
	v_add_f64 v[50:51], v[52:53], v[50:51]
                                        ; implicit-def: $vgpr52_vgpr53
; %bb.129:                              ;   in Loop: Header=BB23_125 Depth=3
	s_andn2_saveexec_b32 s46, s46
; %bb.130:                              ;   in Loop: Header=BB23_125 Depth=3
	v_add_f64 v[44:45], v[52:53], v[44:45]
; %bb.131:                              ;   in Loop: Header=BB23_125 Depth=3
	s_or_b32 exec_lo, exec_lo, s46
	s_waitcnt vmcnt(0)
	v_fma_f64 v[52:53], -v[1:2], v[44:45], v[46:47]
	v_fma_f64 v[60:61], -v[3:4], v[50:51], v[52:53]
.LBB23_132:                             ;   in Loop: Header=BB23_125 Depth=3
	s_andn2_saveexec_b32 s5, s5
	s_cbranch_execz .LBB23_138
; %bb.133:                              ;   in Loop: Header=BB23_125 Depth=3
                                        ; implicit-def: $vgpr60_vgpr61
	s_and_saveexec_b32 s46, s2
	s_xor_b32 s46, exec_lo, s46
	s_cbranch_execz .LBB23_135
; %bb.134:                              ;   in Loop: Header=BB23_125 Depth=3
	global_load_dwordx2 v[52:53], v[27:28], off offset:8
	s_waitcnt vmcnt(0)
	v_mul_f64 v[56:57], v[29:30], v[52:53]
	v_mul_f64 v[52:53], v[52:53], v[56:57]
	v_div_scale_f64 v[56:57], null, v[3:4], v[3:4], v[52:53]
	v_div_scale_f64 v[65:66], vcc_lo, v[52:53], v[3:4], v[52:53]
	v_rcp_f64_e32 v[58:59], v[56:57]
	v_fma_f64 v[60:61], -v[56:57], v[58:59], 1.0
	v_fma_f64 v[58:59], v[58:59], v[60:61], v[58:59]
	v_fma_f64 v[60:61], -v[56:57], v[58:59], 1.0
	v_fma_f64 v[58:59], v[58:59], v[60:61], v[58:59]
	v_mul_f64 v[60:61], v[65:66], v[58:59]
	v_fma_f64 v[56:57], -v[56:57], v[60:61], v[65:66]
	v_div_fmas_f64 v[56:57], v[56:57], v[58:59], v[60:61]
	v_div_fixup_f64 v[52:53], v[56:57], v[3:4], v[52:53]
	v_div_scale_f64 v[56:57], null, v[3:4], v[3:4], v[52:53]
	v_rcp_f64_e32 v[58:59], v[56:57]
	v_fma_f64 v[60:61], -v[56:57], v[58:59], 1.0
	v_fma_f64 v[58:59], v[58:59], v[60:61], v[58:59]
	v_fma_f64 v[60:61], -v[56:57], v[58:59], 1.0
	v_fma_f64 v[58:59], v[58:59], v[60:61], v[58:59]
	v_div_scale_f64 v[60:61], vcc_lo, v[52:53], v[3:4], v[52:53]
	v_mul_f64 v[65:66], v[60:61], v[58:59]
	v_fma_f64 v[56:57], -v[56:57], v[65:66], v[60:61]
	v_div_fmas_f64 v[56:57], v[56:57], v[58:59], v[65:66]
	v_fma_f64 v[58:59], -v[54:55], v[1:2], v[46:47]
	v_div_fixup_f64 v[52:53], v[56:57], v[3:4], v[52:53]
	v_add_f64 v[60:61], v[58:59], -v[52:53]
.LBB23_135:                             ;   in Loop: Header=BB23_125 Depth=3
	s_andn2_saveexec_b32 s46, s46
	s_cbranch_execz .LBB23_137
; %bb.136:                              ;   in Loop: Header=BB23_125 Depth=3
	global_load_dwordx2 v[52:53], v[27:28], off
	s_waitcnt vmcnt(0)
	v_mul_f64 v[56:57], v[38:39], v[52:53]
	v_mul_f64 v[52:53], v[52:53], v[56:57]
	v_div_scale_f64 v[56:57], null, v[1:2], v[1:2], v[52:53]
	v_div_scale_f64 v[65:66], vcc_lo, v[52:53], v[1:2], v[52:53]
	v_rcp_f64_e32 v[58:59], v[56:57]
	v_fma_f64 v[60:61], -v[56:57], v[58:59], 1.0
	v_fma_f64 v[58:59], v[58:59], v[60:61], v[58:59]
	v_fma_f64 v[60:61], -v[56:57], v[58:59], 1.0
	v_fma_f64 v[58:59], v[58:59], v[60:61], v[58:59]
	v_mul_f64 v[60:61], v[65:66], v[58:59]
	v_fma_f64 v[56:57], -v[56:57], v[60:61], v[65:66]
	v_div_fmas_f64 v[56:57], v[56:57], v[58:59], v[60:61]
	v_div_fixup_f64 v[52:53], v[56:57], v[1:2], v[52:53]
	v_div_scale_f64 v[56:57], null, v[1:2], v[1:2], v[52:53]
	v_rcp_f64_e32 v[58:59], v[56:57]
	v_fma_f64 v[60:61], -v[56:57], v[58:59], 1.0
	v_fma_f64 v[58:59], v[58:59], v[60:61], v[58:59]
	v_fma_f64 v[60:61], -v[56:57], v[58:59], 1.0
	v_fma_f64 v[58:59], v[58:59], v[60:61], v[58:59]
	v_div_scale_f64 v[60:61], vcc_lo, v[52:53], v[1:2], v[52:53]
	v_mul_f64 v[65:66], v[60:61], v[58:59]
	v_fma_f64 v[56:57], -v[56:57], v[65:66], v[60:61]
	v_div_fmas_f64 v[56:57], v[56:57], v[58:59], v[65:66]
	v_fma_f64 v[58:59], -v[54:55], v[3:4], v[46:47]
	v_div_fixup_f64 v[52:53], v[56:57], v[1:2], v[52:53]
	v_add_f64 v[60:61], v[58:59], -v[52:53]
.LBB23_137:                             ;   in Loop: Header=BB23_125 Depth=3
	s_or_b32 exec_lo, exec_lo, s46
.LBB23_138:                             ;   in Loop: Header=BB23_125 Depth=3
	s_or_b32 exec_lo, exec_lo, s5
	s_waitcnt vmcnt(0)
	v_mul_f64 v[52:53], v[1:2], v[3:4]
	v_add_f64 v[58:59], v[1:2], v[3:4]
	s_mov_b32 s5, exec_lo
	v_mul_f64 v[65:66], v[54:55], v[52:53]
	v_mul_f64 v[56:57], v[46:47], v[52:53]
                                        ; implicit-def: $vgpr52_vgpr53
	v_fma_f64 v[58:59], v[46:47], v[58:59], -v[65:66]
	v_cmpx_neq_f64_e32 0, v[60:61]
	s_xor_b32 s46, exec_lo, s5
	s_cbranch_execz .LBB23_144
; %bb.139:                              ;   in Loop: Header=BB23_125 Depth=3
	v_mul_f64 v[1:2], v[56:57], -4.0
                                        ; implicit-def: $vgpr52_vgpr53
	v_mul_f64 v[1:2], v[1:2], v[60:61]
	v_fma_f64 v[1:2], v[58:59], v[58:59], v[1:2]
	v_cmp_gt_f64_e64 s5, 0x10000000, |v[1:2]|
	v_cndmask_b32_e64 v3, 0, 0x100, s5
	v_cndmask_b32_e64 v20, 0, 0xffffff80, s5
	v_cmp_ge_f64_e64 s5, 0, v[58:59]
	v_ldexp_f64 v[1:2], |v[1:2]|, v3
	v_rsq_f64_e32 v[3:4], v[1:2]
	v_cmp_class_f64_e64 vcc_lo, v[1:2], 0x260
	v_mul_f64 v[44:45], v[1:2], v[3:4]
	v_mul_f64 v[3:4], v[3:4], 0.5
	v_fma_f64 v[50:51], -v[3:4], v[44:45], 0.5
	v_fma_f64 v[44:45], v[44:45], v[50:51], v[44:45]
	v_fma_f64 v[3:4], v[3:4], v[50:51], v[3:4]
	v_fma_f64 v[50:51], -v[44:45], v[44:45], v[1:2]
	v_fma_f64 v[44:45], v[50:51], v[3:4], v[44:45]
	v_fma_f64 v[50:51], -v[44:45], v[44:45], v[1:2]
	v_fma_f64 v[3:4], v[50:51], v[3:4], v[44:45]
	v_ldexp_f64 v[3:4], v[3:4], v20
	v_cndmask_b32_e32 v2, v4, v2, vcc_lo
	v_cndmask_b32_e32 v1, v3, v1, vcc_lo
	s_and_saveexec_b32 s47, s5
	s_xor_b32 s5, exec_lo, s47
	s_cbranch_execz .LBB23_141
; %bb.140:                              ;   in Loop: Header=BB23_125 Depth=3
	v_add_f64 v[1:2], v[58:59], -v[1:2]
	v_add_f64 v[3:4], v[60:61], v[60:61]
                                        ; implicit-def: $vgpr58_vgpr59
	v_div_scale_f64 v[44:45], null, v[3:4], v[3:4], v[1:2]
	v_rcp_f64_e32 v[50:51], v[44:45]
	v_fma_f64 v[52:53], -v[44:45], v[50:51], 1.0
	v_fma_f64 v[50:51], v[50:51], v[52:53], v[50:51]
	v_fma_f64 v[52:53], -v[44:45], v[50:51], 1.0
	v_fma_f64 v[50:51], v[50:51], v[52:53], v[50:51]
	v_div_scale_f64 v[52:53], vcc_lo, v[1:2], v[3:4], v[1:2]
	v_mul_f64 v[56:57], v[52:53], v[50:51]
	v_fma_f64 v[44:45], -v[44:45], v[56:57], v[52:53]
	v_div_fmas_f64 v[44:45], v[44:45], v[50:51], v[56:57]
                                        ; implicit-def: $vgpr56_vgpr57
	v_div_fixup_f64 v[52:53], v[44:45], v[3:4], v[1:2]
                                        ; implicit-def: $vgpr1_vgpr2
.LBB23_141:                             ;   in Loop: Header=BB23_125 Depth=3
	s_andn2_saveexec_b32 s5, s5
	s_cbranch_execz .LBB23_143
; %bb.142:                              ;   in Loop: Header=BB23_125 Depth=3
	v_add_f64 v[3:4], v[56:57], v[56:57]
	v_add_f64 v[1:2], v[58:59], v[1:2]
	v_div_scale_f64 v[44:45], null, v[1:2], v[1:2], v[3:4]
	v_rcp_f64_e32 v[50:51], v[44:45]
	v_fma_f64 v[52:53], -v[44:45], v[50:51], 1.0
	v_fma_f64 v[50:51], v[50:51], v[52:53], v[50:51]
	v_fma_f64 v[52:53], -v[44:45], v[50:51], 1.0
	v_fma_f64 v[50:51], v[50:51], v[52:53], v[50:51]
	v_div_scale_f64 v[52:53], vcc_lo, v[3:4], v[1:2], v[3:4]
	v_mul_f64 v[56:57], v[52:53], v[50:51]
	v_fma_f64 v[44:45], -v[44:45], v[56:57], v[52:53]
	v_div_fmas_f64 v[44:45], v[44:45], v[50:51], v[56:57]
	v_div_fixup_f64 v[52:53], v[44:45], v[1:2], v[3:4]
.LBB23_143:                             ;   in Loop: Header=BB23_125 Depth=3
	s_or_b32 exec_lo, exec_lo, s5
                                        ; implicit-def: $vgpr58_vgpr59
                                        ; implicit-def: $vgpr56_vgpr57
                                        ; implicit-def: $vgpr1_vgpr2
                                        ; implicit-def: $vgpr50_vgpr51
                                        ; implicit-def: $vgpr44_vgpr45
.LBB23_144:                             ;   in Loop: Header=BB23_125 Depth=3
	s_andn2_saveexec_b32 s5, s46
	s_cbranch_execz .LBB23_156
; %bb.145:                              ;   in Loop: Header=BB23_125 Depth=3
	s_mov_b32 s46, exec_lo
	v_cmpx_eq_f64_e32 0, v[58:59]
	s_cbranch_execz .LBB23_155
; %bb.146:                              ;   in Loop: Header=BB23_125 Depth=3
                                        ; implicit-def: $vgpr58_vgpr59
	s_and_saveexec_b32 s47, s7
	s_xor_b32 s7, exec_lo, s47
	s_cbranch_execz .LBB23_148
; %bb.147:                              ;   in Loop: Header=BB23_125 Depth=3
	v_mul_f64 v[3:4], v[3:4], v[3:4]
	v_mul_f64 v[1:2], v[1:2], v[1:2]
	;; [unrolled: 1-line block ×3, first 2 shown]
                                        ; implicit-def: $vgpr50_vgpr51
	v_fma_f64 v[58:59], v[1:2], v[44:45], v[3:4]
                                        ; implicit-def: $vgpr3_vgpr4
                                        ; implicit-def: $vgpr44_vgpr45
.LBB23_148:                             ;   in Loop: Header=BB23_125 Depth=3
	s_andn2_saveexec_b32 s7, s7
	s_cbranch_execz .LBB23_154
; %bb.149:                              ;   in Loop: Header=BB23_125 Depth=3
	v_add_f64 v[44:45], v[44:45], v[50:51]
                                        ; implicit-def: $vgpr58_vgpr59
	s_and_saveexec_b32 s47, s2
	s_xor_b32 s47, exec_lo, s47
	s_cbranch_execz .LBB23_151
; %bb.150:                              ;   in Loop: Header=BB23_125 Depth=3
	global_load_dwordx2 v[3:4], v[27:28], off offset:8
	v_mul_f64 v[1:2], v[1:2], v[1:2]
	s_waitcnt vmcnt(0)
	v_mul_f64 v[3:4], v[3:4], v[3:4]
	v_fma_f64 v[58:59], v[1:2], v[44:45], v[3:4]
                                        ; implicit-def: $vgpr3_vgpr4
                                        ; implicit-def: $vgpr44_vgpr45
.LBB23_151:                             ;   in Loop: Header=BB23_125 Depth=3
	s_andn2_saveexec_b32 s47, s47
	s_cbranch_execz .LBB23_153
; %bb.152:                              ;   in Loop: Header=BB23_125 Depth=3
	global_load_dwordx2 v[1:2], v[27:28], off
	v_mul_f64 v[3:4], v[3:4], v[3:4]
	s_waitcnt vmcnt(0)
	v_mul_f64 v[1:2], v[1:2], v[1:2]
	v_fma_f64 v[58:59], v[3:4], v[44:45], v[1:2]
.LBB23_153:                             ;   in Loop: Header=BB23_125 Depth=3
	s_or_b32 exec_lo, exec_lo, s47
.LBB23_154:                             ;   in Loop: Header=BB23_125 Depth=3
	s_or_b32 exec_lo, exec_lo, s7
.LBB23_155:                             ;   in Loop: Header=BB23_125 Depth=3
	s_or_b32 exec_lo, exec_lo, s46
	v_div_scale_f64 v[1:2], null, v[58:59], v[58:59], v[56:57]
	v_rcp_f64_e32 v[3:4], v[1:2]
	v_fma_f64 v[44:45], -v[1:2], v[3:4], 1.0
	v_fma_f64 v[3:4], v[3:4], v[44:45], v[3:4]
	v_fma_f64 v[44:45], -v[1:2], v[3:4], 1.0
	v_fma_f64 v[3:4], v[3:4], v[44:45], v[3:4]
	v_div_scale_f64 v[44:45], vcc_lo, v[56:57], v[58:59], v[56:57]
	v_mul_f64 v[50:51], v[44:45], v[3:4]
	v_fma_f64 v[1:2], -v[1:2], v[50:51], v[44:45]
	v_div_fmas_f64 v[1:2], v[1:2], v[3:4], v[50:51]
	v_div_fixup_f64 v[52:53], v[1:2], v[58:59], v[56:57]
.LBB23_156:                             ;   in Loop: Header=BB23_125 Depth=3
	s_or_b32 exec_lo, exec_lo, s5
	v_mul_f64 v[1:2], v[46:47], v[52:53]
	s_mov_b32 s5, exec_lo
	v_cmpx_le_f64_e32 0, v[1:2]
	s_cbranch_execz .LBB23_158
; %bb.157:                              ;   in Loop: Header=BB23_125 Depth=3
	v_div_scale_f64 v[1:2], null, v[54:55], v[54:55], -v[46:47]
	v_rcp_f64_e32 v[3:4], v[1:2]
	v_fma_f64 v[44:45], -v[1:2], v[3:4], 1.0
	v_fma_f64 v[3:4], v[3:4], v[44:45], v[3:4]
	v_fma_f64 v[44:45], -v[1:2], v[3:4], 1.0
	v_fma_f64 v[3:4], v[3:4], v[44:45], v[3:4]
	v_div_scale_f64 v[44:45], vcc_lo, -v[46:47], v[54:55], -v[46:47]
	v_mul_f64 v[50:51], v[44:45], v[3:4]
	v_fma_f64 v[1:2], -v[1:2], v[50:51], v[44:45]
	v_div_fmas_f64 v[1:2], v[1:2], v[3:4], v[50:51]
	v_div_fixup_f64 v[52:53], v[1:2], v[54:55], -v[46:47]
.LBB23_158:                             ;   in Loop: Header=BB23_125 Depth=3
	s_or_b32 exec_lo, exec_lo, s5
	v_cmp_lt_f64_e32 vcc_lo, v[5:6], v[42:43]
	v_cmp_lt_f64_e64 s5, 0, v[46:47]
	v_cmp_lt_f64_e64 s7, v[42:43], v[7:8]
	v_add_f64 v[1:2], v[42:43], v[52:53]
	v_cndmask_b32_e32 v3, v5, v42, vcc_lo
	v_cndmask_b32_e32 v4, v6, v43, vcc_lo
	v_cmp_nge_f64_e32 vcc_lo, 0, v[46:47]
	s_and_b32 s5, s5, s7
	v_cndmask_b32_e64 v8, v8, v43, s5
	v_cndmask_b32_e64 v7, v7, v42, s5
	v_cndmask_b32_e32 v6, v4, v6, vcc_lo
	v_cndmask_b32_e32 v5, v3, v5, vcc_lo
	v_cmp_gt_f64_e32 vcc_lo, v[1:2], v[7:8]
	v_cmp_lt_f64_e64 s5, v[1:2], v[5:6]
	s_or_b32 s7, vcc_lo, s5
	s_and_saveexec_b32 s5, s7
	s_cbranch_execz .LBB23_164
; %bb.159:                              ;   in Loop: Header=BB23_125 Depth=3
	s_mov_b32 s7, exec_lo
                                        ; implicit-def: $vgpr52_vgpr53
	v_cmpx_ngt_f64_e32 0, v[46:47]
	s_xor_b32 s7, exec_lo, s7
	s_cbranch_execz .LBB23_161
; %bb.160:                              ;   in Loop: Header=BB23_125 Depth=3
	v_add_f64 v[1:2], v[5:6], -v[42:43]
	v_mul_f64 v[52:53], v[1:2], 0.5
.LBB23_161:                             ;   in Loop: Header=BB23_125 Depth=3
	s_andn2_saveexec_b32 s7, s7
	s_cbranch_execz .LBB23_163
; %bb.162:                              ;   in Loop: Header=BB23_125 Depth=3
	v_add_f64 v[1:2], v[7:8], -v[42:43]
	v_mul_f64 v[52:53], v[1:2], 0.5
.LBB23_163:                             ;   in Loop: Header=BB23_125 Depth=3
	s_or_b32 exec_lo, exec_lo, s7
.LBB23_164:                             ;   in Loop: Header=BB23_125 Depth=3
	s_or_b32 exec_lo, exec_lo, s5
	v_add_f64 v[48:49], v[48:49], -v[52:53]
	v_mov_b32_e32 v44, 0
	v_mov_b32_e32 v1, 0
	v_mov_b32_e32 v3, 0
	v_mov_b32_e32 v45, 0
	v_mov_b32_e32 v2, 0
	v_mov_b32_e32 v4, 0
	global_store_dwordx2 v[34:35], v[48:49], off
	s_and_saveexec_b32 s7, s4
	s_cbranch_execz .LBB23_168
; %bb.165:                              ;   in Loop: Header=BB23_125 Depth=3
	v_mov_b32_e32 v44, 0
	v_mov_b32_e32 v49, v24
	;; [unrolled: 1-line block ×9, first 2 shown]
	s_mov_b32 s59, 0
	s_mov_b64 s[46:47], s[24:25]
	s_inst_prefetch 0x1
	.p2align	6
.LBB23_166:                             ;   Parent Loop BB23_4 Depth=1
                                        ;     Parent Loop BB23_44 Depth=2
                                        ;       Parent Loop BB23_125 Depth=3
                                        ; =>      This Inner Loop Header: Depth=4
	global_load_dwordx2 v[50:51], v[48:49], off
	v_add_nc_u32_e32 v20, -1, v20
	s_waitcnt vmcnt(0)
	v_add_f64 v[50:51], v[50:51], -v[52:53]
	global_store_dwordx2 v[48:49], v[50:51], off
	global_load_dwordx2 v[54:55], v10, s[46:47]
	v_add_co_u32 v48, s5, v48, 8
	v_add_co_ci_u32_e64 v49, null, 0, v49, s5
	s_add_u32 s46, s46, 8
	s_addc_u32 s47, s47, 0
	s_waitcnt vmcnt(0)
	v_div_scale_f64 v[56:57], null, v[50:51], v[50:51], v[54:55]
	v_div_scale_f64 v[65:66], vcc_lo, v[54:55], v[50:51], v[54:55]
	v_rcp_f64_e32 v[58:59], v[56:57]
	v_fma_f64 v[60:61], -v[56:57], v[58:59], 1.0
	v_fma_f64 v[58:59], v[58:59], v[60:61], v[58:59]
	v_fma_f64 v[60:61], -v[56:57], v[58:59], 1.0
	v_fma_f64 v[58:59], v[58:59], v[60:61], v[58:59]
	v_mul_f64 v[60:61], v[65:66], v[58:59]
	v_fma_f64 v[56:57], -v[56:57], v[60:61], v[65:66]
	v_div_fmas_f64 v[56:57], v[56:57], v[58:59], v[60:61]
	v_cmp_eq_u32_e32 vcc_lo, 0, v20
	s_or_b32 s59, vcc_lo, s59
	v_div_fixup_f64 v[50:51], v[56:57], v[50:51], v[54:55]
	v_fma_f64 v[3:4], v[54:55], v[50:51], v[3:4]
	v_fma_f64 v[44:45], v[50:51], v[50:51], v[44:45]
	v_add_f64 v[1:2], v[1:2], v[3:4]
	s_andn2_b32 exec_lo, exec_lo, s59
	s_cbranch_execnz .LBB23_166
; %bb.167:                              ;   in Loop: Header=BB23_125 Depth=3
	s_inst_prefetch 0x2
	s_or_b32 exec_lo, exec_lo, s59
	v_and_b32_e32 v2, 0x7fffffff, v2
.LBB23_168:                             ;   in Loop: Header=BB23_125 Depth=3
	s_or_b32 exec_lo, exec_lo, s7
	v_mov_b32_e32 v50, 0
	v_mov_b32_e32 v54, 0
	;; [unrolled: 1-line block ×4, first 2 shown]
	s_and_saveexec_b32 s7, s3
	s_cbranch_execz .LBB23_123
; %bb.169:                              ;   in Loop: Header=BB23_125 Depth=3
	v_mov_b32_e32 v50, 0
	v_mov_b32_e32 v54, 0
	;; [unrolled: 1-line block ×6, first 2 shown]
	s_mov_b32 s59, 0
	s_mov_b64 s[46:47], s[44:45]
	s_mov_b32 s68, s38
	s_inst_prefetch 0x1
	.p2align	6
.LBB23_170:                             ;   Parent Loop BB23_4 Depth=1
                                        ;     Parent Loop BB23_44 Depth=2
                                        ;       Parent Loop BB23_125 Depth=3
                                        ; =>      This Inner Loop Header: Depth=4
	global_load_dwordx2 v[56:57], v[48:49], off
	s_add_i32 s68, s68, -1
	s_waitcnt vmcnt(0)
	v_add_f64 v[56:57], v[56:57], -v[52:53]
	global_store_dwordx2 v[48:49], v[56:57], off
	global_load_dwordx2 v[58:59], v10, s[46:47]
	v_add_co_u32 v48, s5, v48, -8
	v_add_co_ci_u32_e64 v49, null, -1, v49, s5
	s_add_u32 s46, s46, -8
	s_addc_u32 s47, s47, -1
	s_waitcnt vmcnt(0)
	v_div_scale_f64 v[60:61], null, v[56:57], v[56:57], v[58:59]
	v_div_scale_f64 v[69:70], vcc_lo, v[58:59], v[56:57], v[58:59]
	v_rcp_f64_e32 v[65:66], v[60:61]
	v_fma_f64 v[67:68], -v[60:61], v[65:66], 1.0
	v_fma_f64 v[65:66], v[65:66], v[67:68], v[65:66]
	v_fma_f64 v[67:68], -v[60:61], v[65:66], 1.0
	v_fma_f64 v[65:66], v[65:66], v[67:68], v[65:66]
	v_mul_f64 v[67:68], v[69:70], v[65:66]
	v_fma_f64 v[60:61], -v[60:61], v[67:68], v[69:70]
	v_div_fmas_f64 v[60:61], v[60:61], v[65:66], v[67:68]
	v_cmp_le_i32_e32 vcc_lo, s68, v33
	s_or_b32 s59, vcc_lo, s59
	v_div_fixup_f64 v[56:57], v[60:61], v[56:57], v[58:59]
	v_fma_f64 v[54:55], v[58:59], v[56:57], v[54:55]
	v_fma_f64 v[50:51], v[56:57], v[56:57], v[50:51]
	v_add_f64 v[1:2], v[1:2], v[54:55]
	s_andn2_b32 exec_lo, exec_lo, s59
	s_cbranch_execnz .LBB23_170
; %bb.171:                              ;   in Loop: Header=BB23_125 Depth=3
	s_inst_prefetch 0x2
	s_or_b32 exec_lo, exec_lo, s59
	s_branch .LBB23_123
.LBB23_172:                             ;   in Loop: Header=BB23_44 Depth=2
	s_or_b32 exec_lo, exec_lo, s8
	v_add_f64 v[5:6], v[31:32], v[42:43]
.LBB23_173:                             ;   in Loop: Header=BB23_44 Depth=2
	s_or_b32 exec_lo, exec_lo, s99
                                        ; implicit-def: $vgpr23_vgpr24
                                        ; implicit-def: $vgpr20
                                        ; implicit-def: $vgpr60
	s_andn2_saveexec_b32 s5, s98
	s_cbranch_execz .LBB23_53
.LBB23_174:                             ;   in Loop: Header=BB23_44 Depth=2
	v_add_co_u32 v5, vcc_lo, v20, s40
	v_add_co_ci_u32_e64 v6, null, s41, v60, vcc_lo
	v_mov_b32_e32 v25, 0
	v_mov_b32_e32 v26, 0
	s_andn2_b32 vcc_lo, exec_lo, s91
	global_load_dwordx4 v[1:4], v[5:6], off offset:-16
	s_waitcnt vmcnt(0)
	v_add_f64 v[27:28], v[15:16], v[3:4]
	s_cbranch_vccnz .LBB23_177
; %bb.175:                              ;   in Loop: Header=BB23_44 Depth=2
	v_mov_b32_e32 v25, 0
	v_mov_b32_e32 v7, v23
	;; [unrolled: 1-line block ×4, first 2 shown]
	s_mov_b64 s[2:3], s[24:25]
	s_mov_b32 s4, s90
	s_inst_prefetch 0x1
	.p2align	6
.LBB23_176:                             ;   Parent Loop BB23_4 Depth=1
                                        ;     Parent Loop BB23_44 Depth=2
                                        ; =>    This Inner Loop Header: Depth=3
	global_load_dwordx2 v[29:30], v[7:8], off
	global_load_dwordx2 v[31:32], v10, s[2:3]
	s_add_i32 s4, s4, -1
	s_add_u32 s2, s2, 8
	s_addc_u32 s3, s3, 0
	s_cmp_lg_u32 s4, 0
	s_waitcnt vmcnt(1)
	v_add_f64 v[29:30], v[29:30], -v[27:28]
	s_waitcnt vmcnt(0)
	v_div_scale_f64 v[33:34], null, v[29:30], v[29:30], v[31:32]
	v_div_scale_f64 v[39:40], vcc_lo, v[31:32], v[29:30], v[31:32]
	v_rcp_f64_e32 v[35:36], v[33:34]
	v_fma_f64 v[37:38], -v[33:34], v[35:36], 1.0
	v_fma_f64 v[35:36], v[35:36], v[37:38], v[35:36]
	v_fma_f64 v[37:38], -v[33:34], v[35:36], 1.0
	v_fma_f64 v[35:36], v[35:36], v[37:38], v[35:36]
	v_mul_f64 v[37:38], v[39:40], v[35:36]
	v_fma_f64 v[33:34], -v[33:34], v[37:38], v[39:40]
	v_div_fmas_f64 v[33:34], v[33:34], v[35:36], v[37:38]
	v_add_co_u32 v7, vcc_lo, v7, 8
	v_add_co_ci_u32_e64 v8, null, 0, v8, vcc_lo
	v_div_fixup_f64 v[29:30], v[33:34], v[29:30], v[31:32]
	v_fma_f64 v[25:26], v[31:32], v[29:30], v[25:26]
	s_cbranch_scc1 .LBB23_176
.LBB23_177:                             ;   in Loop: Header=BB23_44 Depth=2
	s_inst_prefetch 0x2
	global_load_dwordx4 v[31:34], v10, s[42:43] offset:-16
	v_add_f64 v[27:28], v[1:2], -v[27:28]
	v_add_f64 v[25:26], v[13:14], v[25:26]
	v_mov_b32_e32 v8, v4
	v_mov_b32_e32 v7, v3
	s_waitcnt vmcnt(0)
	v_mul_f64 v[31:32], v[31:32], v[31:32]
	v_mul_f64 v[33:34], v[33:34], v[33:34]
	v_div_scale_f64 v[29:30], null, v[27:28], v[27:28], v[31:32]
	v_div_scale_f64 v[39:40], vcc_lo, v[31:32], v[27:28], v[31:32]
	v_rcp_f64_e32 v[35:36], v[29:30]
	v_fma_f64 v[37:38], -v[29:30], v[35:36], 1.0
	v_fma_f64 v[35:36], v[35:36], v[37:38], v[35:36]
	v_fma_f64 v[37:38], -v[29:30], v[35:36], 1.0
	v_fma_f64 v[35:36], v[35:36], v[37:38], v[35:36]
	v_mul_f64 v[37:38], v[39:40], v[35:36]
	v_fma_f64 v[29:30], -v[29:30], v[37:38], v[39:40]
	v_div_fmas_f64 v[35:36], v[29:30], v[35:36], v[37:38]
	v_add_f64 v[29:30], v[25:26], 0
	v_add_f64 v[37:38], v[33:34], v[33:34]
	v_div_fixup_f64 v[27:28], v[35:36], v[27:28], v[31:32]
	v_mul_f64 v[35:36], v[13:14], v[37:38]
	v_add_f64 v[27:28], v[29:30], v[27:28]
	v_cmp_ngt_f64_e32 vcc_lo, v[27:28], v[35:36]
	v_add_f64 v[35:36], v[3:4], -v[1:2]
                                        ; implicit-def: $vgpr1_vgpr2
	s_and_saveexec_b32 s2, vcc_lo
	s_xor_b32 s3, exec_lo, s2
	s_cbranch_execz .LBB23_185
; %bb.178:                              ;   in Loop: Header=BB23_44 Depth=2
	v_add_f64 v[1:2], v[11:12], v[35:36]
	v_div_scale_f64 v[37:38], null, v[11:12], v[11:12], v[33:34]
	v_div_scale_f64 v[27:28], null, v[1:2], v[1:2], v[31:32]
	v_rcp_f64_e32 v[41:42], v[37:38]
	v_div_scale_f64 v[47:48], vcc_lo, v[31:32], v[1:2], v[31:32]
	v_rcp_f64_e32 v[39:40], v[27:28]
	v_fma_f64 v[45:46], -v[37:38], v[41:42], 1.0
	v_fma_f64 v[43:44], -v[27:28], v[39:40], 1.0
	v_fma_f64 v[41:42], v[41:42], v[45:46], v[41:42]
	v_fma_f64 v[39:40], v[39:40], v[43:44], v[39:40]
	v_fma_f64 v[45:46], -v[37:38], v[41:42], 1.0
	v_fma_f64 v[43:44], -v[27:28], v[39:40], 1.0
	v_fma_f64 v[41:42], v[41:42], v[45:46], v[41:42]
	v_fma_f64 v[39:40], v[39:40], v[43:44], v[39:40]
	v_div_scale_f64 v[43:44], s2, v[33:34], v[11:12], v[33:34]
	v_mul_f64 v[45:46], v[47:48], v[39:40]
	v_mul_f64 v[49:50], v[43:44], v[41:42]
	v_fma_f64 v[27:28], -v[27:28], v[45:46], v[47:48]
	v_fma_f64 v[37:38], -v[37:38], v[49:50], v[43:44]
	v_div_fmas_f64 v[27:28], v[27:28], v[39:40], v[45:46]
	s_mov_b32 vcc_lo, s2
	v_div_fmas_f64 v[37:38], v[37:38], v[41:42], v[49:50]
	v_div_fixup_f64 v[1:2], v[27:28], v[1:2], v[31:32]
	v_div_fixup_f64 v[27:28], v[37:38], v[11:12], v[33:34]
	v_add_f64 v[1:2], v[1:2], v[27:28]
	v_cmp_nle_f64_e32 vcc_lo, v[25:26], v[1:2]
	v_mov_b32_e32 v1, v11
	v_mov_b32_e32 v2, v12
	s_and_saveexec_b32 s4, vcc_lo
	s_cbranch_execz .LBB23_184
; %bb.179:                              ;   in Loop: Header=BB23_44 Depth=2
	v_mul_f64 v[25:26], v[35:36], v[33:34]
	v_fma_f64 v[1:2], -v[35:36], v[29:30], v[31:32]
	v_mul_f64 v[31:32], v[25:26], 4.0
	v_add_f64 v[27:28], v[33:34], v[1:2]
	v_mul_f64 v[1:2], v[29:30], v[31:32]
	v_cmp_ngt_f64_e64 s2, 0, v[27:28]
	v_fma_f64 v[1:2], v[27:28], v[27:28], v[1:2]
	v_cmp_gt_f64_e32 vcc_lo, 0x10000000, v[1:2]
	v_cndmask_b32_e64 v20, 0, 0x100, vcc_lo
	v_ldexp_f64 v[1:2], v[1:2], v20
	v_cndmask_b32_e64 v20, 0, 0xffffff80, vcc_lo
	v_rsq_f64_e32 v[31:32], v[1:2]
	v_cmp_class_f64_e64 vcc_lo, v[1:2], 0x260
	v_mul_f64 v[33:34], v[1:2], v[31:32]
	v_mul_f64 v[31:32], v[31:32], 0.5
	v_fma_f64 v[35:36], -v[31:32], v[33:34], 0.5
	v_fma_f64 v[33:34], v[33:34], v[35:36], v[33:34]
	v_fma_f64 v[31:32], v[31:32], v[35:36], v[31:32]
	v_fma_f64 v[35:36], -v[33:34], v[33:34], v[1:2]
	v_fma_f64 v[33:34], v[35:36], v[31:32], v[33:34]
	v_fma_f64 v[35:36], -v[33:34], v[33:34], v[1:2]
	v_fma_f64 v[31:32], v[35:36], v[31:32], v[33:34]
	v_ldexp_f64 v[31:32], v[31:32], v20
	v_cndmask_b32_e32 v32, v32, v2, vcc_lo
	v_cndmask_b32_e32 v31, v31, v1, vcc_lo
                                        ; implicit-def: $vgpr1_vgpr2
	s_and_saveexec_b32 s7, s2
	s_xor_b32 s2, exec_lo, s7
	s_cbranch_execz .LBB23_181
; %bb.180:                              ;   in Loop: Header=BB23_44 Depth=2
	v_add_f64 v[1:2], v[27:28], v[31:32]
	v_add_f64 v[25:26], v[29:30], v[29:30]
	v_div_scale_f64 v[27:28], null, v[25:26], v[25:26], v[1:2]
	v_rcp_f64_e32 v[29:30], v[27:28]
	v_fma_f64 v[31:32], -v[27:28], v[29:30], 1.0
	v_fma_f64 v[29:30], v[29:30], v[31:32], v[29:30]
	v_fma_f64 v[31:32], -v[27:28], v[29:30], 1.0
	v_fma_f64 v[29:30], v[29:30], v[31:32], v[29:30]
	v_div_scale_f64 v[31:32], vcc_lo, v[1:2], v[25:26], v[1:2]
	v_mul_f64 v[33:34], v[31:32], v[29:30]
	v_fma_f64 v[27:28], -v[27:28], v[33:34], v[31:32]
                                        ; implicit-def: $vgpr31_vgpr32
	v_div_fmas_f64 v[27:28], v[27:28], v[29:30], v[33:34]
	v_div_fixup_f64 v[1:2], v[27:28], v[25:26], v[1:2]
                                        ; implicit-def: $vgpr25_vgpr26
                                        ; implicit-def: $vgpr27_vgpr28
.LBB23_181:                             ;   in Loop: Header=BB23_44 Depth=2
	s_andn2_saveexec_b32 s2, s2
	s_cbranch_execz .LBB23_183
; %bb.182:                              ;   in Loop: Header=BB23_44 Depth=2
	v_add_f64 v[1:2], v[25:26], v[25:26]
	v_add_f64 v[25:26], v[31:32], -v[27:28]
	v_div_scale_f64 v[27:28], null, v[25:26], v[25:26], v[1:2]
	v_rcp_f64_e32 v[29:30], v[27:28]
	v_fma_f64 v[31:32], -v[27:28], v[29:30], 1.0
	v_fma_f64 v[29:30], v[29:30], v[31:32], v[29:30]
	v_fma_f64 v[31:32], -v[27:28], v[29:30], 1.0
	v_fma_f64 v[29:30], v[29:30], v[31:32], v[29:30]
	v_div_scale_f64 v[31:32], vcc_lo, v[1:2], v[25:26], v[1:2]
	v_mul_f64 v[33:34], v[31:32], v[29:30]
	v_fma_f64 v[27:28], -v[27:28], v[33:34], v[31:32]
	v_div_fmas_f64 v[27:28], v[27:28], v[29:30], v[33:34]
	v_div_fixup_f64 v[1:2], v[27:28], v[25:26], v[1:2]
.LBB23_183:                             ;   in Loop: Header=BB23_44 Depth=2
	s_or_b32 exec_lo, exec_lo, s2
.LBB23_184:                             ;   in Loop: Header=BB23_44 Depth=2
	s_or_b32 exec_lo, exec_lo, s4
                                        ; implicit-def: $vgpr35_vgpr36
                                        ; implicit-def: $vgpr29_vgpr30
                                        ; implicit-def: $vgpr31_vgpr32
                                        ; implicit-def: $vgpr33_vgpr34
.LBB23_185:                             ;   in Loop: Header=BB23_44 Depth=2
	s_or_saveexec_b32 s3, s3
	v_mov_b32_e32 v26, v16
	v_mov_b32_e32 v28, v12
	;; [unrolled: 1-line block ×4, first 2 shown]
	s_xor_b32 exec_lo, exec_lo, s3
	s_cbranch_execz .LBB23_191
; %bb.186:                              ;   in Loop: Header=BB23_44 Depth=2
	v_mul_f64 v[25:26], v[35:36], v[33:34]
	v_fma_f64 v[1:2], -v[35:36], v[29:30], v[31:32]
	v_mul_f64 v[31:32], v[25:26], 4.0
	v_add_f64 v[27:28], v[33:34], v[1:2]
	v_mul_f64 v[1:2], v[29:30], v[31:32]
	v_cmp_ngt_f64_e64 s2, 0, v[27:28]
	v_fma_f64 v[1:2], v[27:28], v[27:28], v[1:2]
	v_cmp_gt_f64_e32 vcc_lo, 0x10000000, v[1:2]
	v_cndmask_b32_e64 v20, 0, 0x100, vcc_lo
	v_ldexp_f64 v[1:2], v[1:2], v20
	v_cndmask_b32_e64 v20, 0, 0xffffff80, vcc_lo
	v_rsq_f64_e32 v[31:32], v[1:2]
	v_cmp_class_f64_e64 vcc_lo, v[1:2], 0x260
	v_mul_f64 v[33:34], v[1:2], v[31:32]
	v_mul_f64 v[31:32], v[31:32], 0.5
	v_fma_f64 v[35:36], -v[31:32], v[33:34], 0.5
	v_fma_f64 v[33:34], v[33:34], v[35:36], v[33:34]
	v_fma_f64 v[31:32], v[31:32], v[35:36], v[31:32]
	v_fma_f64 v[35:36], -v[33:34], v[33:34], v[1:2]
	v_fma_f64 v[33:34], v[35:36], v[31:32], v[33:34]
	v_fma_f64 v[35:36], -v[33:34], v[33:34], v[1:2]
	v_fma_f64 v[31:32], v[35:36], v[31:32], v[33:34]
	v_ldexp_f64 v[31:32], v[31:32], v20
	v_cndmask_b32_e32 v32, v32, v2, vcc_lo
	v_cndmask_b32_e32 v31, v31, v1, vcc_lo
                                        ; implicit-def: $vgpr1_vgpr2
	s_and_saveexec_b32 s4, s2
	s_xor_b32 s2, exec_lo, s4
	s_cbranch_execz .LBB23_188
; %bb.187:                              ;   in Loop: Header=BB23_44 Depth=2
	v_add_f64 v[1:2], v[27:28], v[31:32]
	v_add_f64 v[25:26], v[29:30], v[29:30]
	v_div_scale_f64 v[27:28], null, v[25:26], v[25:26], v[1:2]
	v_rcp_f64_e32 v[29:30], v[27:28]
	v_fma_f64 v[31:32], -v[27:28], v[29:30], 1.0
	v_fma_f64 v[29:30], v[29:30], v[31:32], v[29:30]
	v_fma_f64 v[31:32], -v[27:28], v[29:30], 1.0
	v_fma_f64 v[29:30], v[29:30], v[31:32], v[29:30]
	v_div_scale_f64 v[31:32], vcc_lo, v[1:2], v[25:26], v[1:2]
	v_mul_f64 v[33:34], v[31:32], v[29:30]
	v_fma_f64 v[27:28], -v[27:28], v[33:34], v[31:32]
                                        ; implicit-def: $vgpr31_vgpr32
	v_div_fmas_f64 v[27:28], v[27:28], v[29:30], v[33:34]
	v_div_fixup_f64 v[1:2], v[27:28], v[25:26], v[1:2]
                                        ; implicit-def: $vgpr25_vgpr26
                                        ; implicit-def: $vgpr27_vgpr28
.LBB23_188:                             ;   in Loop: Header=BB23_44 Depth=2
	s_andn2_saveexec_b32 s2, s2
	s_cbranch_execz .LBB23_190
; %bb.189:                              ;   in Loop: Header=BB23_44 Depth=2
	v_add_f64 v[1:2], v[25:26], v[25:26]
	v_add_f64 v[25:26], v[31:32], -v[27:28]
	v_div_scale_f64 v[27:28], null, v[25:26], v[25:26], v[1:2]
	v_rcp_f64_e32 v[29:30], v[27:28]
	v_fma_f64 v[31:32], -v[27:28], v[29:30], 1.0
	v_fma_f64 v[29:30], v[29:30], v[31:32], v[29:30]
	v_fma_f64 v[31:32], -v[27:28], v[29:30], 1.0
	v_fma_f64 v[29:30], v[29:30], v[31:32], v[29:30]
	v_div_scale_f64 v[31:32], vcc_lo, v[1:2], v[25:26], v[1:2]
	v_mul_f64 v[33:34], v[31:32], v[29:30]
	v_fma_f64 v[27:28], -v[27:28], v[33:34], v[31:32]
	v_div_fmas_f64 v[27:28], v[27:28], v[29:30], v[33:34]
	v_div_fixup_f64 v[1:2], v[27:28], v[25:26], v[1:2]
.LBB23_190:                             ;   in Loop: Header=BB23_44 Depth=2
	s_or_b32 exec_lo, exec_lo, s2
	v_mov_b32_e32 v25, 0
	v_mov_b32_e32 v28, v16
	;; [unrolled: 1-line block ×4, first 2 shown]
.LBB23_191:                             ;   in Loop: Header=BB23_44 Depth=2
	s_or_b32 exec_lo, exec_lo, s3
	v_mov_b32_e32 v30, v24
	v_mov_b32_e32 v29, v23
	s_andn2_b32 vcc_lo, exec_lo, s21
	s_mov_b32 s2, s38
	s_cbranch_vccnz .LBB23_194
.LBB23_192:                             ;   Parent Loop BB23_4 Depth=1
                                        ;     Parent Loop BB23_44 Depth=2
                                        ; =>    This Inner Loop Header: Depth=3
	global_load_dwordx2 v[7:8], v[29:30], off
	s_add_i32 s2, s2, -1
	s_cmp_eq_u32 s2, 0
	s_waitcnt vmcnt(0)
	v_add_f64 v[7:8], v[7:8], -v[3:4]
	global_store_dwordx2 v[29:30], v[7:8], off
	v_add_co_u32 v29, vcc_lo, v29, 8
	v_add_co_ci_u32_e64 v30, null, 0, v30, vcc_lo
	s_cbranch_scc0 .LBB23_192
; %bb.193:                              ;   in Loop: Header=BB23_44 Depth=2
	global_load_dwordx2 v[7:8], v[5:6], off offset:-8
.LBB23_194:                             ;   in Loop: Header=BB23_44 Depth=2
	s_waitcnt vmcnt(0)
	v_add_f64 v[31:32], v[7:8], -v[3:4]
	v_mov_b32_e32 v7, 0
	v_mov_b32_e32 v29, 0
	;; [unrolled: 1-line block ×6, first 2 shown]
	s_andn2_b32 vcc_lo, exec_lo, s21
	global_store_dwordx2 v[5:6], v[31:32], off offset:-8
	s_cbranch_vccnz .LBB23_198
; %bb.195:                              ;   in Loop: Header=BB23_44 Depth=2
	v_mov_b32_e32 v7, 0
	v_mov_b32_e32 v29, 0
	v_mov_b32_e32 v33, 0
	v_mov_b32_e32 v32, v24
	v_mov_b32_e32 v8, 0
	v_mov_b32_e32 v30, 0
	v_mov_b32_e32 v34, 0
	v_mov_b32_e32 v31, v23
	s_mov_b64 s[2:3], s[24:25]
	s_mov_b32 s4, s38
	s_inst_prefetch 0x1
	.p2align	6
.LBB23_196:                             ;   Parent Loop BB23_4 Depth=1
                                        ;     Parent Loop BB23_44 Depth=2
                                        ; =>    This Inner Loop Header: Depth=3
	global_load_dwordx2 v[35:36], v[31:32], off
	s_add_i32 s4, s4, -1
	s_waitcnt vmcnt(0)
	v_add_f64 v[35:36], v[35:36], -v[1:2]
	global_store_dwordx2 v[31:32], v[35:36], off
	global_load_dwordx2 v[37:38], v10, s[2:3]
	s_add_u32 s2, s2, 8
	s_addc_u32 s3, s3, 0
	s_cmp_eq_u32 s4, 0
	s_waitcnt vmcnt(0)
	v_div_scale_f64 v[39:40], null, v[35:36], v[35:36], v[37:38]
	v_div_scale_f64 v[45:46], vcc_lo, v[37:38], v[35:36], v[37:38]
	v_rcp_f64_e32 v[41:42], v[39:40]
	v_fma_f64 v[43:44], -v[39:40], v[41:42], 1.0
	v_fma_f64 v[41:42], v[41:42], v[43:44], v[41:42]
	v_fma_f64 v[43:44], -v[39:40], v[41:42], 1.0
	v_fma_f64 v[41:42], v[41:42], v[43:44], v[41:42]
	v_mul_f64 v[43:44], v[45:46], v[41:42]
	v_fma_f64 v[39:40], -v[39:40], v[43:44], v[45:46]
	v_div_fmas_f64 v[39:40], v[39:40], v[41:42], v[43:44]
	v_add_co_u32 v31, vcc_lo, v31, 8
	v_add_co_ci_u32_e64 v32, null, 0, v32, vcc_lo
	v_div_fixup_f64 v[35:36], v[39:40], v[35:36], v[37:38]
	v_fma_f64 v[33:34], v[37:38], v[35:36], v[33:34]
	v_fma_f64 v[7:8], v[35:36], v[35:36], v[7:8]
	v_add_f64 v[29:30], v[29:30], v[33:34]
	s_cbranch_scc0 .LBB23_196
; %bb.197:                              ;   in Loop: Header=BB23_44 Depth=2
	s_inst_prefetch 0x2
	global_load_dwordx2 v[31:32], v[5:6], off offset:-8
	v_and_b32_e32 v30, 0x7fffffff, v30
.LBB23_198:                             ;   in Loop: Header=BB23_44 Depth=2
	s_waitcnt vmcnt(0)
	v_add_f64 v[31:32], v[31:32], -v[1:2]
	s_mov_b32 s7, exec_lo
	global_store_dwordx2 v[5:6], v[31:32], off offset:-8
	global_load_dwordx2 v[35:36], v10, s[42:43] offset:-8
	s_waitcnt vmcnt(0)
	v_div_scale_f64 v[37:38], null, v[31:32], v[31:32], v[35:36]
	v_rcp_f64_e32 v[39:40], v[37:38]
	v_fma_f64 v[41:42], -v[37:38], v[39:40], 1.0
	v_fma_f64 v[39:40], v[39:40], v[41:42], v[39:40]
	v_fma_f64 v[41:42], -v[37:38], v[39:40], 1.0
	v_fma_f64 v[39:40], v[39:40], v[41:42], v[39:40]
	v_div_scale_f64 v[41:42], vcc_lo, v[35:36], v[31:32], v[35:36]
	v_mul_f64 v[43:44], v[41:42], v[39:40]
	v_fma_f64 v[37:38], -v[37:38], v[43:44], v[41:42]
	v_div_fmas_f64 v[37:38], v[37:38], v[39:40], v[43:44]
	v_div_fixup_f64 v[37:38], v[37:38], v[31:32], v[35:36]
	v_fma_f64 v[39:40], v[35:36], v[37:38], 0
	v_fma_f64 v[35:36], v[37:38], v[37:38], v[7:8]
	v_add_f64 v[41:42], v[33:34], v[39:40]
	v_add_f64 v[29:30], v[29:30], v[39:40]
	;; [unrolled: 1-line block ×3, first 2 shown]
	v_ldexp_f64 v[41:42], -v[41:42], 3
	v_fma_f64 v[41:42], |v[1:2]|, v[35:36], v[41:42]
	v_add_f64 v[41:42], v[41:42], -v[39:40]
	v_add_f64 v[41:42], v[13:14], v[41:42]
	v_add_f64 v[41:42], v[29:30], v[41:42]
	v_add_f64 v[29:30], v[33:34], v[39:40]
	v_mul_f64 v[33:34], s[26:27], v[41:42]
	v_cmpx_nle_f64_e64 |v[29:30]|, v[33:34]
	s_cbranch_execz .LBB23_240
; %bb.199:                              ;   in Loop: Header=BB23_44 Depth=2
	global_load_dwordx2 v[39:40], v[5:6], off offset:-16
	v_mul_f64 v[33:34], v[37:38], v[37:38]
	v_cmp_lt_f64_e64 s2, 0, v[29:30]
	v_cmp_lt_f64_e64 s3, v[1:2], v[27:28]
	s_mov_b32 s4, exec_lo
	s_waitcnt vmcnt(0)
	v_fma_f64 v[7:8], -v[7:8], v[39:40], v[29:30]
	v_fma_f64 v[7:8], -v[31:32], v[33:34], v[7:8]
                                        ; implicit-def: $vgpr33_vgpr34
	v_cmpx_neq_f64_e32 0, v[7:8]
	s_xor_b32 s8, exec_lo, s4
	s_cbranch_execz .LBB23_205
; %bb.200:                              ;   in Loop: Header=BB23_44 Depth=2
	v_mul_f64 v[33:34], v[31:32], v[39:40]
	v_add_f64 v[39:40], v[31:32], v[39:40]
	v_mul_f64 v[37:38], v[29:30], v[33:34]
	v_mul_f64 v[33:34], v[35:36], v[33:34]
	v_mul_f64 v[41:42], v[37:38], -4.0
	v_fma_f64 v[39:40], v[29:30], v[39:40], -v[33:34]
	v_mul_f64 v[33:34], v[41:42], |v[7:8]|
	v_fma_f64 v[33:34], v[39:40], v[39:40], v[33:34]
	v_cmp_gt_f64_e64 s4, 0x10000000, |v[33:34]|
	v_cndmask_b32_e64 v20, 0, 0x100, s4
	v_ldexp_f64 v[33:34], |v[33:34]|, v20
	v_cndmask_b32_e64 v20, 0, 0xffffff80, s4
	v_cmp_le_f64_e64 s4, 0, v[39:40]
	v_rsq_f64_e32 v[41:42], v[33:34]
	v_cmp_class_f64_e64 vcc_lo, v[33:34], 0x260
	v_mul_f64 v[43:44], v[33:34], v[41:42]
	v_mul_f64 v[41:42], v[41:42], 0.5
	v_fma_f64 v[45:46], -v[41:42], v[43:44], 0.5
	v_fma_f64 v[43:44], v[43:44], v[45:46], v[43:44]
	v_fma_f64 v[41:42], v[41:42], v[45:46], v[41:42]
	v_fma_f64 v[45:46], -v[43:44], v[43:44], v[33:34]
	v_fma_f64 v[43:44], v[45:46], v[41:42], v[43:44]
	v_fma_f64 v[45:46], -v[43:44], v[43:44], v[33:34]
	v_fma_f64 v[41:42], v[45:46], v[41:42], v[43:44]
	v_ldexp_f64 v[41:42], v[41:42], v20
	v_cndmask_b32_e32 v42, v42, v34, vcc_lo
	v_cndmask_b32_e32 v41, v41, v33, vcc_lo
                                        ; implicit-def: $vgpr33_vgpr34
	s_and_saveexec_b32 s31, s4
	s_xor_b32 s4, exec_lo, s31
	s_cbranch_execz .LBB23_202
; %bb.201:                              ;   in Loop: Header=BB23_44 Depth=2
	v_add_f64 v[33:34], v[39:40], v[41:42]
	v_add_f64 v[7:8], |v[7:8]|, |v[7:8]|
	v_div_scale_f64 v[37:38], null, v[7:8], v[7:8], v[33:34]
	v_rcp_f64_e32 v[39:40], v[37:38]
	v_fma_f64 v[41:42], -v[37:38], v[39:40], 1.0
	v_fma_f64 v[39:40], v[39:40], v[41:42], v[39:40]
	v_fma_f64 v[41:42], -v[37:38], v[39:40], 1.0
	v_fma_f64 v[39:40], v[39:40], v[41:42], v[39:40]
	v_div_scale_f64 v[41:42], vcc_lo, v[33:34], v[7:8], v[33:34]
	v_mul_f64 v[43:44], v[41:42], v[39:40]
	v_fma_f64 v[37:38], -v[37:38], v[43:44], v[41:42]
                                        ; implicit-def: $vgpr41_vgpr42
	v_div_fmas_f64 v[37:38], v[37:38], v[39:40], v[43:44]
                                        ; implicit-def: $vgpr39_vgpr40
	v_div_fixup_f64 v[33:34], v[37:38], v[7:8], v[33:34]
                                        ; implicit-def: $vgpr37_vgpr38
.LBB23_202:                             ;   in Loop: Header=BB23_44 Depth=2
	s_andn2_saveexec_b32 s4, s4
	s_cbranch_execz .LBB23_204
; %bb.203:                              ;   in Loop: Header=BB23_44 Depth=2
	v_add_f64 v[7:8], v[37:38], v[37:38]
	v_add_f64 v[33:34], v[39:40], -v[41:42]
	v_div_scale_f64 v[37:38], null, v[33:34], v[33:34], v[7:8]
	v_rcp_f64_e32 v[39:40], v[37:38]
	v_fma_f64 v[41:42], -v[37:38], v[39:40], 1.0
	v_fma_f64 v[39:40], v[39:40], v[41:42], v[39:40]
	v_fma_f64 v[41:42], -v[37:38], v[39:40], 1.0
	v_fma_f64 v[39:40], v[39:40], v[41:42], v[39:40]
	v_div_scale_f64 v[41:42], vcc_lo, v[7:8], v[33:34], v[7:8]
	v_mul_f64 v[43:44], v[41:42], v[39:40]
	v_fma_f64 v[37:38], -v[37:38], v[43:44], v[41:42]
	v_div_fmas_f64 v[37:38], v[37:38], v[39:40], v[43:44]
	v_div_fixup_f64 v[33:34], v[37:38], v[33:34], v[7:8]
.LBB23_204:                             ;   in Loop: Header=BB23_44 Depth=2
	s_or_b32 exec_lo, exec_lo, s4
.LBB23_205:                             ;   in Loop: Header=BB23_44 Depth=2
	s_or_saveexec_b32 s4, s8
	s_and_b32 vcc_lo, s3, s2
	v_cndmask_b32_e32 v8, v28, v2, vcc_lo
	v_cndmask_b32_e32 v7, v27, v1, vcc_lo
	s_xor_b32 exec_lo, exec_lo, s4
; %bb.206:                              ;   in Loop: Header=BB23_44 Depth=2
	v_add_f64 v[33:34], v[7:8], -v[1:2]
; %bb.207:                              ;   in Loop: Header=BB23_44 Depth=2
	s_or_b32 exec_lo, exec_lo, s4
	v_mul_f64 v[27:28], v[29:30], v[33:34]
	s_mov_b32 s2, exec_lo
	v_cmpx_lt_f64_e32 0, v[27:28]
	s_cbranch_execz .LBB23_209
; %bb.208:                              ;   in Loop: Header=BB23_44 Depth=2
	v_div_scale_f64 v[27:28], null, v[35:36], v[35:36], -v[29:30]
	v_rcp_f64_e32 v[33:34], v[27:28]
	v_fma_f64 v[37:38], -v[27:28], v[33:34], 1.0
	v_fma_f64 v[33:34], v[33:34], v[37:38], v[33:34]
	v_fma_f64 v[37:38], -v[27:28], v[33:34], 1.0
	v_fma_f64 v[33:34], v[33:34], v[37:38], v[33:34]
	v_div_scale_f64 v[37:38], vcc_lo, -v[29:30], v[35:36], -v[29:30]
	v_mul_f64 v[39:40], v[37:38], v[33:34]
	v_fma_f64 v[27:28], -v[27:28], v[39:40], v[37:38]
	v_div_fmas_f64 v[27:28], v[27:28], v[33:34], v[39:40]
	v_div_fixup_f64 v[33:34], v[27:28], v[35:36], -v[29:30]
.LBB23_209:                             ;   in Loop: Header=BB23_44 Depth=2
	s_or_b32 exec_lo, exec_lo, s2
	v_cmp_lt_f64_e32 vcc_lo, v[25:26], v[1:2]
	v_add_f64 v[27:28], v[1:2], v[33:34]
	v_cndmask_b32_e32 v20, v25, v1, vcc_lo
	v_cndmask_b32_e32 v35, v26, v2, vcc_lo
	v_cmp_nge_f64_e32 vcc_lo, 0, v[29:30]
	v_cndmask_b32_e32 v26, v35, v26, vcc_lo
	v_cndmask_b32_e32 v25, v20, v25, vcc_lo
	v_cmp_gt_f64_e32 vcc_lo, v[27:28], v[7:8]
	v_cmp_lt_f64_e64 s2, v[27:28], v[25:26]
	s_or_b32 s3, vcc_lo, s2
	s_and_saveexec_b32 s2, s3
	s_cbranch_execz .LBB23_215
; %bb.210:                              ;   in Loop: Header=BB23_44 Depth=2
	s_mov_b32 s3, exec_lo
                                        ; implicit-def: $vgpr33_vgpr34
	v_cmpx_ngt_f64_e32 0, v[29:30]
	s_xor_b32 s3, exec_lo, s3
	s_cbranch_execz .LBB23_212
; %bb.211:                              ;   in Loop: Header=BB23_44 Depth=2
	v_add_f64 v[27:28], v[25:26], -v[1:2]
	v_mul_f64 v[33:34], v[27:28], 0.5
.LBB23_212:                             ;   in Loop: Header=BB23_44 Depth=2
	s_andn2_saveexec_b32 s3, s3
	s_cbranch_execz .LBB23_214
; %bb.213:                              ;   in Loop: Header=BB23_44 Depth=2
	v_add_f64 v[27:28], v[7:8], -v[1:2]
	v_mul_f64 v[33:34], v[27:28], 0.5
.LBB23_214:                             ;   in Loop: Header=BB23_44 Depth=2
	s_or_b32 exec_lo, exec_lo, s3
.LBB23_215:                             ;   in Loop: Header=BB23_44 Depth=2
	s_or_b32 exec_lo, exec_lo, s2
	v_mov_b32_e32 v29, 0
	v_mov_b32_e32 v35, 0
	;; [unrolled: 1-line block ×6, first 2 shown]
	s_andn2_b32 vcc_lo, exec_lo, s21
	s_cbranch_vccnz .LBB23_219
; %bb.216:                              ;   in Loop: Header=BB23_44 Depth=2
	v_mov_b32_e32 v29, 0
	v_mov_b32_e32 v35, 0
	;; [unrolled: 1-line block ×8, first 2 shown]
	s_mov_b64 s[2:3], s[24:25]
	s_mov_b32 s4, s38
	s_inst_prefetch 0x1
	.p2align	6
.LBB23_217:                             ;   Parent Loop BB23_4 Depth=1
                                        ;     Parent Loop BB23_44 Depth=2
                                        ; =>    This Inner Loop Header: Depth=3
	global_load_dwordx2 v[31:32], v[27:28], off
	s_add_i32 s4, s4, -1
	s_waitcnt vmcnt(0)
	v_add_f64 v[31:32], v[31:32], -v[33:34]
	global_store_dwordx2 v[27:28], v[31:32], off
	global_load_dwordx2 v[39:40], v10, s[2:3]
	s_add_u32 s2, s2, 8
	s_addc_u32 s3, s3, 0
	s_cmp_eq_u32 s4, 0
	s_waitcnt vmcnt(0)
	v_div_scale_f64 v[41:42], null, v[31:32], v[31:32], v[39:40]
	v_div_scale_f64 v[47:48], vcc_lo, v[39:40], v[31:32], v[39:40]
	v_rcp_f64_e32 v[43:44], v[41:42]
	v_fma_f64 v[45:46], -v[41:42], v[43:44], 1.0
	v_fma_f64 v[43:44], v[43:44], v[45:46], v[43:44]
	v_fma_f64 v[45:46], -v[41:42], v[43:44], 1.0
	v_fma_f64 v[43:44], v[43:44], v[45:46], v[43:44]
	v_mul_f64 v[45:46], v[47:48], v[43:44]
	v_fma_f64 v[41:42], -v[41:42], v[45:46], v[47:48]
	v_div_fmas_f64 v[41:42], v[41:42], v[43:44], v[45:46]
	v_add_co_u32 v27, vcc_lo, v27, 8
	v_add_co_ci_u32_e64 v28, null, 0, v28, vcc_lo
	v_div_fixup_f64 v[31:32], v[41:42], v[31:32], v[39:40]
	v_fma_f64 v[37:38], v[39:40], v[31:32], v[37:38]
	v_fma_f64 v[29:30], v[31:32], v[31:32], v[29:30]
	v_add_f64 v[35:36], v[35:36], v[37:38]
	s_cbranch_scc0 .LBB23_217
; %bb.218:                              ;   in Loop: Header=BB23_44 Depth=2
	s_inst_prefetch 0x2
	global_load_dwordx2 v[31:32], v[5:6], off offset:-8
	v_and_b32_e32 v36, 0x7fffffff, v36
.LBB23_219:                             ;   in Loop: Header=BB23_44 Depth=2
	s_waitcnt vmcnt(0)
	v_add_f64 v[27:28], v[31:32], -v[33:34]
	v_add_f64 v[1:2], v[1:2], v[33:34]
	s_mov_b32 s4, exec_lo
	global_store_dwordx2 v[5:6], v[27:28], off offset:-8
	global_load_dwordx2 v[31:32], v10, s[42:43] offset:-8
	s_waitcnt vmcnt(0)
	v_div_scale_f64 v[39:40], null, v[27:28], v[27:28], v[31:32]
	v_rcp_f64_e32 v[41:42], v[39:40]
	v_fma_f64 v[43:44], -v[39:40], v[41:42], 1.0
	v_fma_f64 v[41:42], v[41:42], v[43:44], v[41:42]
	v_fma_f64 v[43:44], -v[39:40], v[41:42], 1.0
	v_fma_f64 v[41:42], v[41:42], v[43:44], v[41:42]
	v_div_scale_f64 v[43:44], vcc_lo, v[31:32], v[27:28], v[31:32]
	v_mul_f64 v[45:46], v[43:44], v[41:42]
	v_fma_f64 v[39:40], -v[39:40], v[45:46], v[43:44]
	v_div_fmas_f64 v[39:40], v[39:40], v[41:42], v[45:46]
	v_div_fixup_f64 v[39:40], v[39:40], v[27:28], v[31:32]
	v_fma_f64 v[31:32], v[31:32], v[39:40], 0
	v_fma_f64 v[33:34], v[39:40], v[39:40], v[29:30]
	v_add_f64 v[41:42], v[37:38], v[31:32]
	v_add_f64 v[35:36], v[35:36], v[31:32]
	;; [unrolled: 1-line block ×3, first 2 shown]
	v_ldexp_f64 v[41:42], -v[41:42], 3
	v_fma_f64 v[33:34], |v[1:2]|, v[33:34], v[41:42]
	v_add_f64 v[33:34], v[33:34], -v[31:32]
	v_add_f64 v[31:32], v[37:38], v[31:32]
	v_add_f64 v[33:34], v[13:14], v[33:34]
	;; [unrolled: 1-line block ×3, first 2 shown]
	v_mul_f64 v[33:34], s[26:27], v[33:34]
	v_cmpx_nle_f64_e64 |v[31:32]|, v[33:34]
	s_cbranch_execz .LBB23_239
; %bb.220:                              ;   in Loop: Header=BB23_44 Depth=2
	v_mul_f64 v[33:34], v[39:40], v[39:40]
	s_mov_b32 s31, 1
	s_mov_b32 s8, 0
	s_branch .LBB23_222
.LBB23_221:                             ;   in Loop: Header=BB23_222 Depth=3
	s_waitcnt vmcnt(0)
	v_add_f64 v[27:28], v[27:28], -v[33:34]
	v_add_f64 v[1:2], v[1:2], v[33:34]
	s_add_i32 s3, s31, 1
	s_cmp_gt_u32 s31, 48
	s_cselect_b32 s31, -1, 0
	global_store_dwordx2 v[5:6], v[27:28], off offset:-8
	global_load_dwordx2 v[37:38], v10, s[42:43] offset:-8
	s_waitcnt vmcnt(0)
	v_div_scale_f64 v[39:40], null, v[27:28], v[27:28], v[37:38]
	v_rcp_f64_e32 v[41:42], v[39:40]
	v_fma_f64 v[43:44], -v[39:40], v[41:42], 1.0
	v_fma_f64 v[41:42], v[41:42], v[43:44], v[41:42]
	v_fma_f64 v[43:44], -v[39:40], v[41:42], 1.0
	v_fma_f64 v[41:42], v[41:42], v[43:44], v[41:42]
	v_div_scale_f64 v[43:44], vcc_lo, v[37:38], v[27:28], v[37:38]
	v_mul_f64 v[45:46], v[43:44], v[41:42]
	v_fma_f64 v[39:40], -v[39:40], v[45:46], v[43:44]
	v_div_fmas_f64 v[39:40], v[39:40], v[41:42], v[45:46]
	v_div_fixup_f64 v[39:40], v[39:40], v[27:28], v[37:38]
	v_fma_f64 v[37:38], v[37:38], v[39:40], 0
	v_fma_f64 v[33:34], v[39:40], v[39:40], v[29:30]
	v_add_f64 v[41:42], v[35:36], v[37:38]
	v_add_f64 v[31:32], v[31:32], v[37:38]
	v_add_f64 v[35:36], v[13:14], v[35:36]
	v_ldexp_f64 v[41:42], -v[41:42], 3
	v_fma_f64 v[33:34], |v[1:2]|, v[33:34], v[41:42]
	v_add_f64 v[33:34], v[33:34], -v[37:38]
	v_add_f64 v[33:34], v[13:14], v[33:34]
	v_add_f64 v[33:34], v[31:32], v[33:34]
	;; [unrolled: 1-line block ×3, first 2 shown]
	v_mul_f64 v[33:34], s[26:27], v[33:34]
	v_cmp_le_f64_e64 s2, |v[31:32]|, v[33:34]
	v_mul_f64 v[33:34], v[39:40], v[39:40]
	s_or_b32 s2, s31, s2
	s_mov_b32 s31, s3
	s_and_b32 s2, exec_lo, s2
	s_or_b32 s8, s2, s8
	s_andn2_b32 exec_lo, exec_lo, s8
	s_cbranch_execz .LBB23_238
.LBB23_222:                             ;   Parent Loop BB23_4 Depth=1
                                        ;     Parent Loop BB23_44 Depth=2
                                        ; =>    This Loop Header: Depth=3
                                        ;         Child Loop BB23_236 Depth 4
	global_load_dwordx2 v[37:38], v[5:6], off offset:-16
	s_waitcnt vmcnt(0)
	v_mul_f64 v[41:42], v[27:28], v[37:38]
	v_fma_f64 v[39:40], -v[29:30], v[37:38], v[31:32]
	v_add_f64 v[29:30], v[33:34], v[29:30]
	v_add_f64 v[37:38], v[27:28], v[37:38]
	v_mul_f64 v[35:36], v[31:32], v[41:42]
	v_fma_f64 v[39:40], -v[27:28], v[33:34], v[39:40]
	v_mul_f64 v[33:34], v[29:30], v[41:42]
	v_mul_f64 v[41:42], v[35:36], -4.0
	v_fma_f64 v[37:38], v[31:32], v[37:38], -v[33:34]
	v_mul_f64 v[33:34], v[41:42], v[39:40]
	v_fma_f64 v[33:34], v[37:38], v[37:38], v[33:34]
	v_cmp_gt_f64_e64 s2, 0x10000000, |v[33:34]|
	v_cndmask_b32_e64 v20, 0, 0x100, s2
	v_ldexp_f64 v[33:34], |v[33:34]|, v20
	v_cndmask_b32_e64 v20, 0, 0xffffff80, s2
	v_cmp_le_f64_e64 s2, 0, v[37:38]
	v_rsq_f64_e32 v[41:42], v[33:34]
	v_cmp_class_f64_e64 vcc_lo, v[33:34], 0x260
	v_mul_f64 v[43:44], v[33:34], v[41:42]
	v_mul_f64 v[41:42], v[41:42], 0.5
	v_fma_f64 v[45:46], -v[41:42], v[43:44], 0.5
	v_fma_f64 v[43:44], v[43:44], v[45:46], v[43:44]
	v_fma_f64 v[41:42], v[41:42], v[45:46], v[41:42]
	v_fma_f64 v[45:46], -v[43:44], v[43:44], v[33:34]
	v_fma_f64 v[43:44], v[45:46], v[41:42], v[43:44]
	v_fma_f64 v[45:46], -v[43:44], v[43:44], v[33:34]
	v_fma_f64 v[41:42], v[45:46], v[41:42], v[43:44]
	v_ldexp_f64 v[41:42], v[41:42], v20
	v_cndmask_b32_e32 v42, v42, v34, vcc_lo
	v_cndmask_b32_e32 v41, v41, v33, vcc_lo
                                        ; implicit-def: $vgpr33_vgpr34
	s_and_saveexec_b32 s3, s2
	s_xor_b32 s2, exec_lo, s3
	s_cbranch_execz .LBB23_224
; %bb.223:                              ;   in Loop: Header=BB23_222 Depth=3
	v_add_f64 v[33:34], v[37:38], v[41:42]
	v_add_f64 v[35:36], v[39:40], v[39:40]
	v_div_scale_f64 v[37:38], null, v[35:36], v[35:36], v[33:34]
	v_rcp_f64_e32 v[39:40], v[37:38]
	v_fma_f64 v[41:42], -v[37:38], v[39:40], 1.0
	v_fma_f64 v[39:40], v[39:40], v[41:42], v[39:40]
	v_fma_f64 v[41:42], -v[37:38], v[39:40], 1.0
	v_fma_f64 v[39:40], v[39:40], v[41:42], v[39:40]
	v_div_scale_f64 v[41:42], vcc_lo, v[33:34], v[35:36], v[33:34]
	v_mul_f64 v[43:44], v[41:42], v[39:40]
	v_fma_f64 v[37:38], -v[37:38], v[43:44], v[41:42]
                                        ; implicit-def: $vgpr41_vgpr42
	v_div_fmas_f64 v[37:38], v[37:38], v[39:40], v[43:44]
	v_div_fixup_f64 v[33:34], v[37:38], v[35:36], v[33:34]
                                        ; implicit-def: $vgpr35_vgpr36
                                        ; implicit-def: $vgpr37_vgpr38
.LBB23_224:                             ;   in Loop: Header=BB23_222 Depth=3
	s_andn2_saveexec_b32 s2, s2
	s_cbranch_execz .LBB23_226
; %bb.225:                              ;   in Loop: Header=BB23_222 Depth=3
	v_add_f64 v[33:34], v[35:36], v[35:36]
	v_add_f64 v[35:36], v[37:38], -v[41:42]
	v_div_scale_f64 v[37:38], null, v[35:36], v[35:36], v[33:34]
	v_rcp_f64_e32 v[39:40], v[37:38]
	v_fma_f64 v[41:42], -v[37:38], v[39:40], 1.0
	v_fma_f64 v[39:40], v[39:40], v[41:42], v[39:40]
	v_fma_f64 v[41:42], -v[37:38], v[39:40], 1.0
	v_fma_f64 v[39:40], v[39:40], v[41:42], v[39:40]
	v_div_scale_f64 v[41:42], vcc_lo, v[33:34], v[35:36], v[33:34]
	v_mul_f64 v[43:44], v[41:42], v[39:40]
	v_fma_f64 v[37:38], -v[37:38], v[43:44], v[41:42]
	v_div_fmas_f64 v[37:38], v[37:38], v[39:40], v[43:44]
	v_div_fixup_f64 v[33:34], v[37:38], v[35:36], v[33:34]
.LBB23_226:                             ;   in Loop: Header=BB23_222 Depth=3
	s_or_b32 exec_lo, exec_lo, s2
	v_mul_f64 v[35:36], v[31:32], v[33:34]
	s_mov_b32 s2, exec_lo
	v_cmpx_lt_f64_e32 0, v[35:36]
	s_cbranch_execz .LBB23_228
; %bb.227:                              ;   in Loop: Header=BB23_222 Depth=3
	v_div_scale_f64 v[33:34], null, v[29:30], v[29:30], -v[31:32]
	v_rcp_f64_e32 v[35:36], v[33:34]
	v_fma_f64 v[37:38], -v[33:34], v[35:36], 1.0
	v_fma_f64 v[35:36], v[35:36], v[37:38], v[35:36]
	v_fma_f64 v[37:38], -v[33:34], v[35:36], 1.0
	v_fma_f64 v[35:36], v[35:36], v[37:38], v[35:36]
	v_div_scale_f64 v[37:38], vcc_lo, -v[31:32], v[29:30], -v[31:32]
	v_mul_f64 v[39:40], v[37:38], v[35:36]
	v_fma_f64 v[33:34], -v[33:34], v[39:40], v[37:38]
	v_div_fmas_f64 v[33:34], v[33:34], v[35:36], v[39:40]
	v_div_fixup_f64 v[33:34], v[33:34], v[29:30], -v[31:32]
.LBB23_228:                             ;   in Loop: Header=BB23_222 Depth=3
	s_or_b32 exec_lo, exec_lo, s2
	v_cmp_lt_f64_e32 vcc_lo, v[25:26], v[1:2]
	v_cmp_lt_f64_e64 s2, 0, v[31:32]
	v_cmp_lt_f64_e64 s3, v[1:2], v[7:8]
	v_add_f64 v[29:30], v[1:2], v[33:34]
	v_cndmask_b32_e32 v20, v25, v1, vcc_lo
	v_cndmask_b32_e32 v35, v26, v2, vcc_lo
	v_cmp_nge_f64_e32 vcc_lo, 0, v[31:32]
	s_and_b32 s2, s2, s3
	v_cndmask_b32_e64 v8, v8, v2, s2
	v_cndmask_b32_e64 v7, v7, v1, s2
	v_cndmask_b32_e32 v26, v35, v26, vcc_lo
	v_cndmask_b32_e32 v25, v20, v25, vcc_lo
	v_cmp_gt_f64_e32 vcc_lo, v[29:30], v[7:8]
	v_cmp_lt_f64_e64 s2, v[29:30], v[25:26]
	s_or_b32 s3, vcc_lo, s2
	s_and_saveexec_b32 s2, s3
	s_cbranch_execz .LBB23_234
; %bb.229:                              ;   in Loop: Header=BB23_222 Depth=3
	s_mov_b32 s3, exec_lo
                                        ; implicit-def: $vgpr33_vgpr34
	v_cmpx_ngt_f64_e32 0, v[31:32]
	s_xor_b32 s3, exec_lo, s3
	s_cbranch_execz .LBB23_231
; %bb.230:                              ;   in Loop: Header=BB23_222 Depth=3
	v_add_f64 v[29:30], v[25:26], -v[1:2]
	v_mul_f64 v[33:34], v[29:30], 0.5
.LBB23_231:                             ;   in Loop: Header=BB23_222 Depth=3
	s_andn2_saveexec_b32 s3, s3
	s_cbranch_execz .LBB23_233
; %bb.232:                              ;   in Loop: Header=BB23_222 Depth=3
	v_add_f64 v[29:30], v[7:8], -v[1:2]
	v_mul_f64 v[33:34], v[29:30], 0.5
.LBB23_233:                             ;   in Loop: Header=BB23_222 Depth=3
	s_or_b32 exec_lo, exec_lo, s3
.LBB23_234:                             ;   in Loop: Header=BB23_222 Depth=3
	s_or_b32 exec_lo, exec_lo, s2
	v_mov_b32_e32 v29, 0
	v_mov_b32_e32 v31, 0
	;; [unrolled: 1-line block ×6, first 2 shown]
	s_andn2_b32 vcc_lo, exec_lo, s21
	s_cbranch_vccnz .LBB23_221
; %bb.235:                              ;   in Loop: Header=BB23_222 Depth=3
	v_mov_b32_e32 v29, 0
	v_mov_b32_e32 v31, 0
	v_mov_b32_e32 v35, 0
	v_mov_b32_e32 v28, v24
	v_mov_b32_e32 v30, 0
	v_mov_b32_e32 v32, 0
	v_mov_b32_e32 v36, 0
	v_mov_b32_e32 v27, v23
	s_mov_b64 s[2:3], s[24:25]
	s_mov_b32 s46, s38
	s_inst_prefetch 0x1
	.p2align	6
.LBB23_236:                             ;   Parent Loop BB23_4 Depth=1
                                        ;     Parent Loop BB23_44 Depth=2
                                        ;       Parent Loop BB23_222 Depth=3
                                        ; =>      This Inner Loop Header: Depth=4
	global_load_dwordx2 v[37:38], v[27:28], off
	s_add_i32 s46, s46, -1
	s_waitcnt vmcnt(0)
	v_add_f64 v[37:38], v[37:38], -v[33:34]
	global_store_dwordx2 v[27:28], v[37:38], off
	global_load_dwordx2 v[39:40], v10, s[2:3]
	s_add_u32 s2, s2, 8
	s_addc_u32 s3, s3, 0
	s_cmp_eq_u32 s46, 0
	s_waitcnt vmcnt(0)
	v_div_scale_f64 v[41:42], null, v[37:38], v[37:38], v[39:40]
	v_div_scale_f64 v[47:48], vcc_lo, v[39:40], v[37:38], v[39:40]
	v_rcp_f64_e32 v[43:44], v[41:42]
	v_fma_f64 v[45:46], -v[41:42], v[43:44], 1.0
	v_fma_f64 v[43:44], v[43:44], v[45:46], v[43:44]
	v_fma_f64 v[45:46], -v[41:42], v[43:44], 1.0
	v_fma_f64 v[43:44], v[43:44], v[45:46], v[43:44]
	v_mul_f64 v[45:46], v[47:48], v[43:44]
	v_fma_f64 v[41:42], -v[41:42], v[45:46], v[47:48]
	v_div_fmas_f64 v[41:42], v[41:42], v[43:44], v[45:46]
	v_add_co_u32 v27, vcc_lo, v27, 8
	v_add_co_ci_u32_e64 v28, null, 0, v28, vcc_lo
	v_div_fixup_f64 v[37:38], v[41:42], v[37:38], v[39:40]
	v_fma_f64 v[35:36], v[39:40], v[37:38], v[35:36]
	v_fma_f64 v[29:30], v[37:38], v[37:38], v[29:30]
	v_add_f64 v[31:32], v[31:32], v[35:36]
	s_cbranch_scc0 .LBB23_236
; %bb.237:                              ;   in Loop: Header=BB23_222 Depth=3
	s_inst_prefetch 0x2
	global_load_dwordx2 v[27:28], v[5:6], off offset:-8
	v_and_b32_e32 v32, 0x7fffffff, v32
	s_branch .LBB23_221
.LBB23_238:                             ;   in Loop: Header=BB23_44 Depth=2
	s_or_b32 exec_lo, exec_lo, s8
.LBB23_239:                             ;   in Loop: Header=BB23_44 Depth=2
	s_or_b32 exec_lo, exec_lo, s4
.LBB23_240:                             ;   in Loop: Header=BB23_44 Depth=2
	s_or_b32 exec_lo, exec_lo, s7
	v_add_f64 v[5:6], v[3:4], v[1:2]
	s_or_b32 exec_lo, exec_lo, s5
	global_store_dwordx2 v[21:22], v[5:6], off
	s_and_b32 exec_lo, exec_lo, s1
	s_cbranch_execz .LBB23_43
.LBB23_241:                             ;   in Loop: Header=BB23_44 Depth=2
	v_xor_b32_e32 v6, 0x80000000, v6
	global_store_dwordx2 v[21:22], v[5:6], off
	s_branch .LBB23_43
.LBB23_242:                             ;   in Loop: Header=BB23_4 Depth=1
	s_or_b32 exec_lo, exec_lo, s84
	s_waitcnt_vscnt null, 0x0
	s_barrier
	buffer_gl0_inv
	s_and_saveexec_b32 s7, s0
	s_cbranch_execz .LBB23_2
; %bb.243:                              ;   in Loop: Header=BB23_4 Depth=1
	v_readlane_b32 s4, v77, 0
	s_add_u32 s2, s50, s36
	s_addc_u32 s3, s51, s37
	s_lshl_b64 s[0:1], s[22:23], 2
	v_mov_b32_e32 v9, v0
	s_add_u32 s8, s4, s0
	v_readlane_b32 s4, v77, 1
	s_mov_b32 s31, 0
	s_addc_u32 s21, s4, s1
	s_add_u32 s4, s72, s0
	s_addc_u32 s5, s73, s1
	s_branch .LBB23_246
.LBB23_244:                             ;   in Loop: Header=BB23_246 Depth=2
	v_cmp_gt_f64_e64 s0, 0x10000000, |v[1:2]|
	v_cndmask_b32_e64 v3, 0, 0x100, s0
	v_ldexp_f64 v[1:2], |v[1:2]|, v3
	v_rsq_f64_e32 v[3:4], v[1:2]
	v_cmp_class_f64_e64 vcc_lo, v[1:2], 0x260
	v_mul_f64 v[5:6], v[1:2], v[3:4]
	v_mul_f64 v[3:4], v[3:4], 0.5
	v_fma_f64 v[7:8], -v[3:4], v[5:6], 0.5
	v_fma_f64 v[5:6], v[5:6], v[7:8], v[5:6]
	v_fma_f64 v[3:4], v[3:4], v[7:8], v[3:4]
	v_fma_f64 v[7:8], -v[5:6], v[5:6], v[1:2]
	v_fma_f64 v[5:6], v[7:8], v[3:4], v[5:6]
	v_fma_f64 v[7:8], -v[5:6], v[5:6], v[1:2]
	v_fma_f64 v[3:4], v[7:8], v[3:4], v[5:6]
	v_cndmask_b32_e64 v5, 0, 0xffffff80, s0
	v_ldexp_f64 v[3:4], v[3:4], v5
	v_cndmask_b32_e32 v2, v4, v2, vcc_lo
	v_cndmask_b32_e32 v1, v3, v1, vcc_lo
.LBB23_245:                             ;   in Loop: Header=BB23_246 Depth=2
	v_lshlrev_b64 v[3:4], 3, v[9:10]
	v_add_nc_u32_e32 v9, s11, v9
	v_xor_b32_e32 v7, 0x80000000, v2
	v_add_co_u32 v3, vcc_lo, s24, v3
	v_add_co_ci_u32_e64 v4, null, s25, v4, vcc_lo
	v_cmp_le_u32_e32 vcc_lo, s20, v9
	global_load_dwordx2 v[5:6], v[3:4], off
	s_or_b32 s31, vcc_lo, s31
	s_waitcnt vmcnt(0)
	v_cmp_gt_f64_e64 s0, 0, v[5:6]
	v_cndmask_b32_e64 v2, v2, v7, s0
	global_store_dwordx2 v[3:4], v[1:2], off
	s_andn2_b32 exec_lo, exec_lo, s31
	s_cbranch_execz .LBB23_2
.LBB23_246:                             ;   Parent Loop BB23_4 Depth=1
                                        ; =>  This Loop Header: Depth=2
                                        ;       Child Loop BB23_250 Depth 3
	s_andn2_b32 vcc_lo, exec_lo, s81
	s_cbranch_vccnz .LBB23_253
; %bb.247:                              ;   in Loop: Header=BB23_246 Depth=2
	v_lshlrev_b64 v[3:4], 2, v[9:10]
	v_mov_b32_e32 v1, 0
	v_mov_b32_e32 v2, 0x3ff00000
	;; [unrolled: 1-line block ×3, first 2 shown]
	s_mov_b32 s36, 0
	s_mov_b64 s[0:1], s[2:3]
	v_add_co_u32 v3, vcc_lo, s8, v3
	v_add_co_ci_u32_e64 v4, null, s21, v4, vcc_lo
	s_mov_b64 s[22:23], s[4:5]
	s_branch .LBB23_250
.LBB23_248:                             ;   in Loop: Header=BB23_250 Depth=3
	s_or_b32 exec_lo, exec_lo, s37
	s_waitcnt vmcnt(0)
	v_mul_f64 v[1:2], v[1:2], v[6:7]
.LBB23_249:                             ;   in Loop: Header=BB23_250 Depth=3
	s_add_i32 s36, s36, 1
	s_add_u32 s22, s22, 4
	v_add_nc_u32_e32 v5, s30, v5
	s_addc_u32 s23, s23, 0
	s_add_u32 s0, s0, 8
	s_addc_u32 s1, s1, 0
	s_cmp_eq_u32 s80, s36
	s_cbranch_scc1 .LBB23_244
.LBB23_250:                             ;   Parent Loop BB23_4 Depth=1
                                        ;     Parent Loop BB23_246 Depth=2
                                        ; =>    This Inner Loop Header: Depth=3
	global_load_dword v6, v10, s[22:23]
	s_waitcnt vmcnt(0)
	v_cmp_ne_u32_e32 vcc_lo, 1, v6
	s_cbranch_vccnz .LBB23_249
; %bb.251:                              ;   in Loop: Header=BB23_250 Depth=3
	v_ashrrev_i32_e32 v6, 31, v5
	s_mov_b32 s37, exec_lo
	v_lshlrev_b64 v[6:7], 3, v[5:6]
	v_add_co_u32 v6, vcc_lo, s82, v6
	v_add_co_ci_u32_e64 v7, null, s83, v7, vcc_lo
	global_load_dword v11, v[3:4], off offset:8
	global_load_dwordx2 v[6:7], v[6:7], off
	s_waitcnt vmcnt(1)
	v_cmpx_ne_u32_e64 s36, v11
	s_cbranch_execz .LBB23_248
; %bb.252:                              ;   in Loop: Header=BB23_250 Depth=3
	v_ashrrev_i32_e32 v12, 31, v11
	v_lshlrev_b64 v[11:12], 3, v[11:12]
	v_add_co_u32 v11, vcc_lo, s2, v11
	v_add_co_ci_u32_e64 v12, null, s3, v12, vcc_lo
	global_load_dwordx2 v[13:14], v10, s[0:1]
	global_load_dwordx2 v[11:12], v[11:12], off
	s_waitcnt vmcnt(0)
	v_add_f64 v[11:12], v[11:12], -v[13:14]
	v_div_scale_f64 v[13:14], null, v[11:12], v[11:12], v[6:7]
	v_rcp_f64_e32 v[15:16], v[13:14]
	v_fma_f64 v[17:18], -v[13:14], v[15:16], 1.0
	v_fma_f64 v[15:16], v[15:16], v[17:18], v[15:16]
	v_fma_f64 v[17:18], -v[13:14], v[15:16], 1.0
	v_fma_f64 v[15:16], v[15:16], v[17:18], v[15:16]
	v_div_scale_f64 v[17:18], vcc_lo, v[6:7], v[11:12], v[6:7]
	v_mul_f64 v[19:20], v[17:18], v[15:16]
	v_fma_f64 v[13:14], -v[13:14], v[19:20], v[17:18]
	v_div_fmas_f64 v[13:14], v[13:14], v[15:16], v[19:20]
	v_div_fixup_f64 v[6:7], v[13:14], v[11:12], v[6:7]
	s_branch .LBB23_248
.LBB23_253:                             ;   in Loop: Header=BB23_246 Depth=2
	v_mov_b32_e32 v1, 0
	v_mov_b32_e32 v2, 0x3ff00000
	s_branch .LBB23_245
.LBB23_254:
	s_endpgm
	.section	.rodata,"a",@progbits
	.p2align	6, 0x0
	.amdhsa_kernel _ZN9rocsolver6v33100L25stedcx_mergeValues_kernelIdEEviiPT_lS3_lS3_S3_PiS2_S2_S2_
		.amdhsa_group_segment_fixed_size 0
		.amdhsa_private_segment_fixed_size 0
		.amdhsa_kernarg_size 344
		.amdhsa_user_sgpr_count 6
		.amdhsa_user_sgpr_private_segment_buffer 1
		.amdhsa_user_sgpr_dispatch_ptr 0
		.amdhsa_user_sgpr_queue_ptr 0
		.amdhsa_user_sgpr_kernarg_segment_ptr 1
		.amdhsa_user_sgpr_dispatch_id 0
		.amdhsa_user_sgpr_flat_scratch_init 0
		.amdhsa_user_sgpr_private_segment_size 0
		.amdhsa_wavefront_size32 1
		.amdhsa_uses_dynamic_stack 0
		.amdhsa_system_sgpr_private_segment_wavefront_offset 0
		.amdhsa_system_sgpr_workgroup_id_x 1
		.amdhsa_system_sgpr_workgroup_id_y 1
		.amdhsa_system_sgpr_workgroup_id_z 1
		.amdhsa_system_sgpr_workgroup_info 0
		.amdhsa_system_vgpr_workitem_id 0
		.amdhsa_next_free_vgpr 78
		.amdhsa_next_free_sgpr 105
		.amdhsa_reserve_vcc 1
		.amdhsa_reserve_flat_scratch 0
		.amdhsa_float_round_mode_32 0
		.amdhsa_float_round_mode_16_64 0
		.amdhsa_float_denorm_mode_32 3
		.amdhsa_float_denorm_mode_16_64 3
		.amdhsa_dx10_clamp 1
		.amdhsa_ieee_mode 1
		.amdhsa_fp16_overflow 0
		.amdhsa_workgroup_processor_mode 1
		.amdhsa_memory_ordered 1
		.amdhsa_forward_progress 1
		.amdhsa_shared_vgpr_count 0
		.amdhsa_exception_fp_ieee_invalid_op 0
		.amdhsa_exception_fp_denorm_src 0
		.amdhsa_exception_fp_ieee_div_zero 0
		.amdhsa_exception_fp_ieee_overflow 0
		.amdhsa_exception_fp_ieee_underflow 0
		.amdhsa_exception_fp_ieee_inexact 0
		.amdhsa_exception_int_div_zero 0
	.end_amdhsa_kernel
	.section	.text._ZN9rocsolver6v33100L25stedcx_mergeValues_kernelIdEEviiPT_lS3_lS3_S3_PiS2_S2_S2_,"axG",@progbits,_ZN9rocsolver6v33100L25stedcx_mergeValues_kernelIdEEviiPT_lS3_lS3_S3_PiS2_S2_S2_,comdat
.Lfunc_end23:
	.size	_ZN9rocsolver6v33100L25stedcx_mergeValues_kernelIdEEviiPT_lS3_lS3_S3_PiS2_S2_S2_, .Lfunc_end23-_ZN9rocsolver6v33100L25stedcx_mergeValues_kernelIdEEviiPT_lS3_lS3_S3_PiS2_S2_S2_
                                        ; -- End function
	.set _ZN9rocsolver6v33100L25stedcx_mergeValues_kernelIdEEviiPT_lS3_lS3_S3_PiS2_S2_S2_.num_vgpr, 78
	.set _ZN9rocsolver6v33100L25stedcx_mergeValues_kernelIdEEviiPT_lS3_lS3_S3_PiS2_S2_S2_.num_agpr, 0
	.set _ZN9rocsolver6v33100L25stedcx_mergeValues_kernelIdEEviiPT_lS3_lS3_S3_PiS2_S2_S2_.numbered_sgpr, 105
	.set _ZN9rocsolver6v33100L25stedcx_mergeValues_kernelIdEEviiPT_lS3_lS3_S3_PiS2_S2_S2_.num_named_barrier, 0
	.set _ZN9rocsolver6v33100L25stedcx_mergeValues_kernelIdEEviiPT_lS3_lS3_S3_PiS2_S2_S2_.private_seg_size, 0
	.set _ZN9rocsolver6v33100L25stedcx_mergeValues_kernelIdEEviiPT_lS3_lS3_S3_PiS2_S2_S2_.uses_vcc, 1
	.set _ZN9rocsolver6v33100L25stedcx_mergeValues_kernelIdEEviiPT_lS3_lS3_S3_PiS2_S2_S2_.uses_flat_scratch, 0
	.set _ZN9rocsolver6v33100L25stedcx_mergeValues_kernelIdEEviiPT_lS3_lS3_S3_PiS2_S2_S2_.has_dyn_sized_stack, 0
	.set _ZN9rocsolver6v33100L25stedcx_mergeValues_kernelIdEEviiPT_lS3_lS3_S3_PiS2_S2_S2_.has_recursion, 0
	.set _ZN9rocsolver6v33100L25stedcx_mergeValues_kernelIdEEviiPT_lS3_lS3_S3_PiS2_S2_S2_.has_indirect_call, 0
	.section	.AMDGPU.csdata,"",@progbits
; Kernel info:
; codeLenInByte = 16436
; TotalNumSgprs: 107
; NumVgprs: 78
; ScratchSize: 0
; MemoryBound: 1
; FloatMode: 240
; IeeeMode: 1
; LDSByteSize: 0 bytes/workgroup (compile time only)
; SGPRBlocks: 0
; VGPRBlocks: 9
; NumSGPRsForWavesPerEU: 107
; NumVGPRsForWavesPerEU: 78
; Occupancy: 12
; WaveLimiterHint : 1
; COMPUTE_PGM_RSRC2:SCRATCH_EN: 0
; COMPUTE_PGM_RSRC2:USER_SGPR: 6
; COMPUTE_PGM_RSRC2:TRAP_HANDLER: 0
; COMPUTE_PGM_RSRC2:TGID_X_EN: 1
; COMPUTE_PGM_RSRC2:TGID_Y_EN: 1
; COMPUTE_PGM_RSRC2:TGID_Z_EN: 1
; COMPUTE_PGM_RSRC2:TIDIG_COMP_CNT: 0
	.section	.text._ZN9rocsolver6v33100L26stedcx_mergeVectors_kernelILb0EdEEviiPT0_lS3_lS3_iilS3_S3_Pi,"axG",@progbits,_ZN9rocsolver6v33100L26stedcx_mergeVectors_kernelILb0EdEEviiPT0_lS3_lS3_iilS3_S3_Pi,comdat
	.globl	_ZN9rocsolver6v33100L26stedcx_mergeVectors_kernelILb0EdEEviiPT0_lS3_lS3_iilS3_S3_Pi ; -- Begin function _ZN9rocsolver6v33100L26stedcx_mergeVectors_kernelILb0EdEEviiPT0_lS3_lS3_iilS3_S3_Pi
	.p2align	8
	.type	_ZN9rocsolver6v33100L26stedcx_mergeVectors_kernelILb0EdEEviiPT0_lS3_lS3_iilS3_S3_Pi,@function
_ZN9rocsolver6v33100L26stedcx_mergeVectors_kernelILb0EdEEviiPT0_lS3_lS3_iilS3_S3_Pi: ; @_ZN9rocsolver6v33100L26stedcx_mergeVectors_kernelILb0EdEEviiPT0_lS3_lS3_iilS3_S3_Pi
; %bb.0:
	s_clause 0x1
	s_load_dwordx4 s[0:3], s[4:5], 0x28
	s_load_dwordx8 s[12:19], s[4:5], 0x38
	s_mov_b32 s10, s7
	s_waitcnt lgkmcnt(0)
	s_cmp_eq_u64 s[0:1], 0
	s_cbranch_scc1 .LBB24_2
; %bb.1:
	s_ashr_i32 s7, s8, 31
	s_mul_hi_u32 s9, s12, s8
	s_mul_i32 s7, s12, s7
	s_mul_i32 s11, s13, s8
	s_add_i32 s7, s9, s7
	s_mul_i32 s12, s12, s8
	s_add_i32 s13, s7, s11
	s_ashr_i32 s21, s2, 31
	s_lshl_b64 s[12:13], s[12:13], 3
	s_mov_b32 s20, s2
	s_add_u32 s2, s0, s12
	s_addc_u32 s7, s1, s13
	s_lshl_b64 s[0:1], s[20:21], 3
	s_add_u32 s12, s2, s0
	s_addc_u32 s13, s7, s1
	s_branch .LBB24_3
.LBB24_2:
                                        ; implicit-def: $sgpr12_sgpr13
.LBB24_3:
	s_load_dwordx2 s[20:21], s[4:5], 0x0
	s_waitcnt lgkmcnt(0)
	s_mul_i32 s0, s21, 5
	s_mov_b32 s26, s21
	s_add_i32 s0, s0, 2
	s_mul_i32 s0, s0, s8
	s_ashr_i32 s1, s0, 31
	s_lshl_b64 s[24:25], s[0:1], 2
	s_add_u32 s7, s18, s24
	s_addc_u32 s30, s19, s25
	s_ashr_i32 s27, s21, 31
	s_lshl_b64 s[0:1], s[26:27], 2
	s_add_u32 s22, s7, s0
	s_addc_u32 s23, s30, s1
	s_load_dword s31, s[22:23], 0x4
	s_waitcnt lgkmcnt(0)
	s_cmp_ge_i32 s10, s31
	s_cbranch_scc1 .LBB24_47
; %bb.4:
	s_load_dword s2, s[4:5], 0x64
	s_add_u32 s33, s22, s0
	s_addc_u32 s34, s23, s1
	s_add_u32 s35, s33, s0
	s_mul_i32 s4, s21, s21
	s_addc_u32 s36, s34, s1
	s_lshl_b32 s11, s8, 1
	s_mul_i32 s47, s26, 12
	s_mul_i32 s8, s11, s4
	;; [unrolled: 1-line block ×3, first 2 shown]
	s_ashr_i32 s9, s8, 31
	s_ashr_i32 s29, s28, 31
	s_lshl_b64 s[8:9], s[8:9], 3
	s_mov_b32 s5, 0
	s_add_u32 s37, s16, s8
	s_addc_u32 s38, s17, s9
	s_lshl_b32 s39, 2, s20
	s_not_b32 s41, s20
	v_lshlrev_b32_e32 v1, 3, v0
	v_cvt_f32_u32_e32 v2, s39
	s_waitcnt lgkmcnt(0)
	s_and_b32 s40, 0xffff, s2
	v_mov_b32_e32 v14, 0
	s_cmp_gt_u32 s40, 1
	v_add_nc_u32_e32 v13, 0, v1
	s_cselect_b32 s42, -1, 0
	s_ashr_i32 s43, s6, 31
	s_abs_i32 s44, s6
	s_add_u32 s0, s0, s24
	s_addc_u32 s1, s1, s25
	s_add_u32 s0, s18, s0
	s_addc_u32 s1, s19, s1
	;; [unrolled: 2-line block ×3, first 2 shown]
	s_mul_hi_i32 s0, s26, 12
	s_add_u32 s1, s47, s24
	s_addc_u32 s0, s0, s25
	s_add_u32 s1, s18, s1
	s_addc_u32 s0, s19, s0
	;; [unrolled: 2-line block ×3, first 2 shown]
	s_lshl_b64 s[4:5], s[4:5], 3
	v_cmp_eq_u32_e64 s0, 0, v0
	s_add_u32 s1, s8, s4
	s_addc_u32 s2, s9, s5
	s_add_u32 s49, s16, s1
	s_addc_u32 s50, s17, s2
	s_lshl_b64 s[4:5], s[28:29], 3
	s_lshl_b32 s51, s40, 3
	s_add_u32 s1, s14, s4
	s_addc_u32 s2, s15, s5
	v_add_co_u32 v15, s1, s1, v1
	v_rcp_iflag_f32_e32 v1, v2
	s_lshl_b64 s[4:5], s[26:27], 4
	v_lshlrev_b32_e32 v2, 2, v0
	v_add_co_ci_u32_e64 v16, null, s2, 0, s1
	s_add_u32 s1, s4, s24
	s_addc_u32 s2, s5, s25
	s_add_u32 s1, s18, s1
	s_addc_u32 s2, s19, s2
	v_add_co_u32 v2, s1, s1, v2
	v_add_co_ci_u32_e64 v3, null, s2, 0, s1
	v_mul_f32_e32 v1, 0x4f7ffffe, v1
	v_add_co_u32 v17, vcc_lo, v2, 8
	v_add_co_ci_u32_e64 v18, null, 0, v3, vcc_lo
	v_cvt_u32_f32_e32 v19, v1
	s_lshl_b32 s52, s40, 2
	s_sub_i32 s53, 0, s39
                                        ; implicit-def: $vgpr1_vgpr2
	s_branch .LBB24_6
.LBB24_5:                               ;   in Loop: Header=BB24_6 Depth=1
	s_add_i32 s10, s10, 8
	s_cmp_ge_i32 s10, s31
	s_cbranch_scc1 .LBB24_47
.LBB24_6:                               ; =>This Loop Header: Depth=1
                                        ;     Child Loop BB24_14 Depth 2
                                        ;     Child Loop BB24_17 Depth 2
	;; [unrolled: 1-line block ×6, first 2 shown]
                                        ;       Child Loop BB24_35 Depth 3
                                        ;       Child Loop BB24_38 Depth 3
	s_ashr_i32 s11, s10, 31
	s_lshl_b64 s[4:5], s[10:11], 2
	s_barrier
	s_add_u32 s4, s7, s4
	s_addc_u32 s5, s30, s5
	buffer_gl0_inv
	s_load_dwordx2 s[4:5], s[4:5], 0x0
	s_mov_b32 s1, 0
	s_waitcnt lgkmcnt(0)
	s_sub_i32 s2, s5, s4
	s_cmp_lt_i32 s2, 3
	s_cbranch_scc1 .LBB24_11
; %bb.7:                                ;   in Loop: Header=BB24_6 Depth=1
	s_cmp_lt_u32 s2, 5
	s_mov_b32 s1, 1
	s_cbranch_scc1 .LBB24_11
; %bb.8:                                ;   in Loop: Header=BB24_6 Depth=1
	s_cmp_lt_u32 s2, 33
	s_mov_b32 s1, 2
	s_cbranch_scc1 .LBB24_11
; %bb.9:                                ;   in Loop: Header=BB24_6 Depth=1
	s_cmpk_lt_u32 s2, 0xe9
	s_mov_b32 s1, 4
	s_cbranch_scc1 .LBB24_11
; %bb.10:                               ;   in Loop: Header=BB24_6 Depth=1
	s_cmpk_lt_u32 s2, 0x128
	s_cselect_b32 s1, 5, 7
	s_cmpk_lt_u32 s2, 0x79b
	s_cselect_b32 s1, s1, 8
.LBB24_11:                              ;   in Loop: Header=BB24_6 Depth=1
	s_lshl_b32 s5, 1, s1
	s_add_i32 s9, s2, -1
	v_cvt_f32_u32_e32 v3, s5
	s_sub_i32 s11, 0, s5
	s_ashr_i32 s2, s9, 31
	s_add_i32 s9, s9, s2
	v_rcp_iflag_f32_e32 v3, v3
	s_xor_b32 s54, s9, s2
	v_mul_f32_e32 v3, 0x4f7ffffe, v3
	v_cvt_u32_f32_e32 v3, v3
	v_readfirstlane_b32 s8, v3
	s_mul_i32 s11, s11, s8
	s_mul_hi_u32 s11, s8, s11
	s_add_i32 s8, s8, s11
	s_mul_hi_u32 s8, s54, s8
	s_mul_i32 s9, s8, s5
	s_add_i32 s11, s8, 1
	s_sub_i32 s9, s54, s9
	s_sub_i32 s14, s9, s5
	s_cmp_ge_u32 s9, s5
	s_cselect_b32 s8, s11, s8
	s_cselect_b32 s9, s14, s9
	s_add_i32 s11, s8, 1
	s_cmp_ge_u32 s9, s5
	s_cselect_b32 s5, s11, s8
	s_xor_b32 s5, s5, s2
	s_sub_i32 s55, s5, s2
	s_add_i32 s55, s55, 1
	s_lshl_b32 s5, s55, s1
	s_cmp_ge_i32 s6, s5
	s_cselect_b32 s5, -1, 0
	s_cmp_ge_i32 s20, s1
	s_cselect_b32 s8, -1, 0
	s_or_b32 s5, s8, s5
	s_and_b32 vcc_lo, exec_lo, s5
	s_cbranch_vccnz .LBB24_5
; %bb.12:                               ;   in Loop: Header=BB24_6 Depth=1
	s_ashr_i32 s5, s4, 31
	s_lshl_b64 s[16:17], s[4:5], 2
	s_add_u32 s11, s22, s16
	s_addc_u32 s25, s23, s17
	s_add_u32 s26, s33, s16
	s_addc_u32 s27, s34, s17
	s_abs_i32 s4, s55
	v_cvt_f32_u32_e32 v3, s4
	s_sub_i32 s8, 0, s4
	v_rcp_iflag_f32_e32 v3, v3
	v_mul_f32_e32 v3, 0x4f7ffffe, v3
	v_cvt_u32_f32_e32 v3, v3
	v_readfirstlane_b32 s5, v3
	s_mul_i32 s8, s8, s5
	s_mul_hi_u32 s8, s5, s8
	s_add_i32 s5, s5, s8
	s_ashr_i32 s8, s55, 31
	s_mul_hi_u32 s5, s44, s5
	s_xor_b32 s8, s43, s8
	s_mul_i32 s9, s5, s4
	s_add_i32 s14, s5, 1
	s_sub_i32 s9, s44, s9
	s_sub_i32 s15, s9, s4
	s_cmp_ge_u32 s9, s4
	s_cselect_b32 s5, s14, s5
	s_cselect_b32 s9, s15, s9
	s_add_i32 s14, s5, 1
	s_cmp_ge_u32 s9, s4
	s_cselect_b32 s4, s14, s5
	v_readfirstlane_b32 s14, v19
	s_xor_b32 s4, s4, s8
	s_sub_i32 s8, s4, s8
	s_ashr_i32 s9, s8, 31
	s_mul_i32 s15, s53, s14
	s_lshl_b64 s[18:19], s[8:9], 2
	s_mul_hi_u32 s15, s14, s15
	s_add_u32 s4, s26, s18
	s_addc_u32 s5, s27, s19
	s_add_i32 s24, s8, s9
	s_add_i32 s14, s14, s15
	s_xor_b32 s24, s24, s9
	s_mul_hi_u32 s14, s24, s14
	s_mul_i32 s14, s14, s39
	s_sub_i32 s14, s24, s14
	s_sub_i32 s15, s14, s39
	s_cmp_ge_u32 s14, s39
	s_cselect_b32 s14, s15, s14
	s_sub_i32 s15, s14, s39
	s_cmp_ge_u32 s14, s39
	s_cselect_b32 s14, s15, s14
	s_xor_b32 s14, s14, s9
	s_sub_i32 s24, s14, s9
	s_sub_i32 s14, s8, s24
	s_ashr_i32 s15, s14, 31
	s_lshl_b64 s[14:15], s[14:15], 2
	s_add_u32 s26, s26, s14
	s_addc_u32 s27, s27, s15
	s_add_u32 s14, s11, s18
	s_addc_u32 s15, s25, s19
	s_cmp_lt_i32 s24, 1
	s_load_dword s11, s[14:15], 0x8
	s_cbranch_scc1 .LBB24_15
; %bb.13:                               ;   in Loop: Header=BB24_6 Depth=1
	s_add_i32 s9, s24, 1
	s_add_u32 s56, s16, s18
	s_addc_u32 s57, s17, s19
	s_ashr_i32 s25, s24, 31
	s_lshl_b64 s[28:29], s[24:25], 2
	s_sub_u32 s25, s56, s28
	s_subb_u32 s29, s57, s29
	s_add_u32 s28, s45, s25
	s_addc_u32 s29, s46, s29
.LBB24_14:                              ;   Parent Loop BB24_6 Depth=1
                                        ; =>  This Inner Loop Header: Depth=2
	s_load_dword s25, s[28:29], 0x0
	s_add_i32 s9, s9, -1
	s_waitcnt lgkmcnt(0)
	s_add_i32 s11, s25, s11
	s_add_u32 s28, s28, 4
	s_addc_u32 s29, s29, 0
	s_cmp_lt_u32 s9, 2
	s_cbranch_scc0 .LBB24_14
.LBB24_15:                              ;   in Loop: Header=BB24_6 Depth=1
	s_clause 0x1
	s_load_dword s9, s[4:5], 0x8
	s_load_dword s4, s[26:27], 0x8
	s_not_b32 s5, s24
	s_add_i32 s26, s39, s5
	s_cmp_lt_i32 s26, 1
	s_cbranch_scc1 .LBB24_18
; %bb.16:                               ;   in Loop: Header=BB24_6 Depth=1
	s_ashr_i32 s27, s26, 31
	s_lshl_b64 s[26:27], s[26:27], 2
	s_add_u32 s5, s16, s26
	s_addc_u32 s16, s17, s27
	s_add_u32 s5, s5, s18
	s_addc_u32 s17, s16, s19
	;; [unrolled: 2-line block ×3, first 2 shown]
	s_sub_i32 s5, s39, s24
.LBB24_17:                              ;   Parent Loop BB24_6 Depth=1
                                        ; =>  This Inner Loop Header: Depth=2
	s_load_dword s18, s[16:17], 0x0
	s_waitcnt lgkmcnt(0)
	s_add_i32 s11, s18, s11
	s_add_u32 s16, s16, -4
	s_addc_u32 s17, s17, -1
	s_add_i32 s5, s5, -1
	s_cmp_lt_u32 s5, 2
	s_cbranch_scc0 .LBB24_17
.LBB24_18:                              ;   in Loop: Header=BB24_6 Depth=1
	s_waitcnt lgkmcnt(0)
	s_ashr_i32 s5, s4, 31
	s_cmp_lt_i32 s11, 1
	s_cbranch_scc1 .LBB24_21
; %bb.19:                               ;   in Loop: Header=BB24_6 Depth=1
	s_lshl_b64 s[16:17], s[4:5], 2
	s_mov_b32 s18, 0
	s_add_u32 s16, s47, s16
	s_addc_u32 s17, s48, s17
	s_mov_b32 s19, s11
.LBB24_20:                              ;   Parent Loop BB24_6 Depth=1
                                        ; =>  This Inner Loop Header: Depth=2
	s_load_dword s24, s[16:17], 0x0
	s_waitcnt lgkmcnt(0)
	s_cmp_eq_u32 s24, 1
	s_cselect_b32 s24, -1, 0
	s_cmp_lg_u32 s24, 0
	s_addc_u32 s18, s18, 0
	s_add_i32 s19, s19, -1
	s_add_u32 s16, s16, 4
	s_addc_u32 s17, s17, 0
	s_cmp_eq_u32 s19, 0
	s_cbranch_scc0 .LBB24_20
	s_branch .LBB24_22
.LBB24_21:                              ;   in Loop: Header=BB24_6 Depth=1
	s_mov_b32 s18, 0
.LBB24_22:                              ;   in Loop: Header=BB24_6 Depth=1
	s_barrier
	buffer_gl0_inv
	s_load_dword s14, s[14:15], 0x8
	s_mul_i32 s8, s8, s55
	s_sub_i32 s8, s6, s8
	s_waitcnt lgkmcnt(0)
	s_cmp_lt_i32 s8, s14
	s_cbranch_scc0 .LBB24_5
; %bb.23:                               ;   in Loop: Header=BB24_6 Depth=1
	s_add_i32 s8, s8, s9
	s_mov_b32 s16, -1
	s_ashr_i32 s9, s8, 31
	v_cmp_gt_u32_e32 vcc_lo, s18, v0
	s_lshl_b64 s[14:15], s[8:9], 2
	s_add_u32 s14, s35, s14
	s_addc_u32 s15, s36, s15
	s_load_dword s9, s[14:15], 0x8
	s_waitcnt lgkmcnt(0)
	s_cmp_lg_u32 s9, 1
	s_cbranch_scc1 .LBB24_30
; %bb.24:                               ;   in Loop: Header=BB24_6 Depth=1
	v_mov_b32_e32 v1, 0
	v_mov_b32_e32 v2, 0
	s_and_saveexec_b32 s9, vcc_lo
	s_cbranch_execz .LBB24_28
; %bb.25:                               ;   in Loop: Header=BB24_6 Depth=1
	v_mad_u64_u32 v[3:4], null, s8, s21, v[0:1]
	s_lshl_b64 s[16:17], s[4:5], 3
	v_mov_b32_e32 v1, 0
	v_mov_b32_e32 v2, 0
	;; [unrolled: 1-line block ×3, first 2 shown]
	s_mov_b32 s19, 0
	v_ashrrev_i32_e32 v4, 31, v3
	v_lshlrev_b64 v[5:6], 3, v[3:4]
	v_add_co_u32 v3, vcc_lo, v15, s16
	v_add_co_ci_u32_e64 v4, null, s17, v16, vcc_lo
	s_mov_b64 s[16:17], 0
	v_add_co_u32 v5, vcc_lo, s49, v5
	v_add_co_ci_u32_e64 v6, null, s50, v6, vcc_lo
	s_inst_prefetch 0x1
	.p2align	6
.LBB24_26:                              ;   Parent Loop BB24_6 Depth=1
                                        ; =>  This Inner Loop Header: Depth=2
	v_add_co_u32 v8, vcc_lo, v3, s16
	v_add_co_ci_u32_e64 v9, null, s17, v4, vcc_lo
	v_add_co_u32 v10, vcc_lo, v5, s16
	v_add_co_ci_u32_e64 v11, null, s17, v6, vcc_lo
	global_load_dwordx2 v[8:9], v[8:9], off
	global_load_dwordx2 v[20:21], v[10:11], off
	v_add_nc_u32_e32 v7, s40, v7
	s_add_u32 s16, s16, s51
	s_addc_u32 s17, s17, 0
	s_waitcnt vmcnt(0)
	v_div_scale_f64 v[22:23], null, v[20:21], v[20:21], v[8:9]
	v_div_scale_f64 v[28:29], vcc_lo, v[8:9], v[20:21], v[8:9]
	v_rcp_f64_e32 v[24:25], v[22:23]
	v_fma_f64 v[26:27], -v[22:23], v[24:25], 1.0
	v_fma_f64 v[24:25], v[24:25], v[26:27], v[24:25]
	v_fma_f64 v[26:27], -v[22:23], v[24:25], 1.0
	v_fma_f64 v[24:25], v[24:25], v[26:27], v[24:25]
	v_mul_f64 v[26:27], v[28:29], v[24:25]
	v_fma_f64 v[22:23], -v[22:23], v[26:27], v[28:29]
	v_div_fmas_f64 v[22:23], v[22:23], v[24:25], v[26:27]
	v_cmp_le_u32_e32 vcc_lo, s18, v7
	s_or_b32 s19, vcc_lo, s19
	v_div_fixup_f64 v[8:9], v[22:23], v[20:21], v[8:9]
	v_fma_f64 v[1:2], v[8:9], v[8:9], v[1:2]
	global_store_dwordx2 v[10:11], v[8:9], off
	s_andn2_b32 exec_lo, exec_lo, s19
	s_cbranch_execnz .LBB24_26
; %bb.27:                               ;   in Loop: Header=BB24_6 Depth=1
	s_inst_prefetch 0x2
	s_or_b32 exec_lo, exec_lo, s19
.LBB24_28:                              ;   in Loop: Header=BB24_6 Depth=1
	s_or_b32 exec_lo, exec_lo, s9
	s_andn2_b32 vcc_lo, exec_lo, s42
	s_mov_b32 s9, s40
	ds_write_b64 v13, v[1:2]
	s_waitcnt lgkmcnt(0)
	s_waitcnt_vscnt null, 0x0
	s_barrier
	buffer_gl0_inv
	s_cbranch_vccz .LBB24_45
.LBB24_29:                              ;   in Loop: Header=BB24_6 Depth=1
	ds_read_b64 v[1:2], v14
	s_waitcnt lgkmcnt(0)
	v_cmp_gt_f64_e32 vcc_lo, 0x10000000, v[1:2]
	s_and_b32 s9, vcc_lo, exec_lo
	s_cselect_b32 s9, 0x100, 0
	v_ldexp_f64 v[1:2], v[1:2], s9
	s_cselect_b32 s9, 0xffffff80, 0
	v_rsq_f64_e32 v[3:4], v[1:2]
	v_cmp_class_f64_e64 vcc_lo, v[1:2], 0x260
	v_mul_f64 v[5:6], v[1:2], v[3:4]
	v_mul_f64 v[3:4], v[3:4], 0.5
	v_fma_f64 v[7:8], -v[3:4], v[5:6], 0.5
	v_fma_f64 v[5:6], v[5:6], v[7:8], v[5:6]
	v_fma_f64 v[3:4], v[3:4], v[7:8], v[3:4]
	v_fma_f64 v[7:8], -v[5:6], v[5:6], v[1:2]
	v_fma_f64 v[5:6], v[7:8], v[3:4], v[5:6]
	v_fma_f64 v[7:8], -v[5:6], v[5:6], v[1:2]
	v_fma_f64 v[3:4], v[7:8], v[3:4], v[5:6]
	v_ldexp_f64 v[3:4], v[3:4], s9
	s_load_dword s9, s[14:15], 0x8
	s_waitcnt lgkmcnt(0)
	s_cmp_lg_u32 s9, 1
	v_cndmask_b32_e32 v2, v4, v2, vcc_lo
	v_cndmask_b32_e32 v1, v3, v1, vcc_lo
	s_cselect_b32 s16, -1, 0
.LBB24_30:                              ;   in Loop: Header=BB24_6 Depth=1
	s_add_i32 s1, s1, s41
	s_lshl_b32 s1, 1, s1
	s_ashr_i32 s9, s1, 31
	s_add_i32 s1, s1, s9
	s_xor_b32 s1, s1, s9
	v_cvt_f32_u32_e32 v3, s1
	s_sub_i32 s15, 0, s1
	v_rcp_iflag_f32_e32 v3, v3
	v_mul_f32_e32 v3, 0x4f7ffffe, v3
	v_cvt_u32_f32_e32 v3, v3
	v_readfirstlane_b32 s14, v3
	s_mul_i32 s15, s15, s14
	s_mul_hi_u32 s15, s14, s15
	s_add_i32 s14, s14, s15
	s_mul_hi_u32 s14, s54, s14
	s_mul_i32 s15, s14, s1
	s_add_i32 s17, s14, 1
	s_sub_i32 s15, s54, s15
	s_sub_i32 s19, s15, s1
	s_cmp_ge_u32 s15, s1
	s_cselect_b32 s14, s17, s14
	s_cselect_b32 s15, s19, s15
	s_add_i32 s17, s14, 1
	s_cmp_ge_u32 s15, s1
	s_cselect_b32 s1, s17, s14
	s_xor_b32 s2, s2, s9
	s_xor_b32 s1, s1, s2
	s_sub_i32 s9, s1, s2
	s_cmp_lt_i32 s9, 0
	s_cselect_b32 s1, -1, 0
	s_or_b32 s1, s16, s1
	s_and_b32 vcc_lo, exec_lo, s1
	s_cbranch_vccnz .LBB24_5
; %bb.31:                               ;   in Loop: Header=BB24_6 Depth=1
	s_mul_i32 s14, s8, s21
	s_lshl_b64 s[16:17], s[4:5], 2
	v_add_nc_u32_e32 v3, s14, v0
	v_cmp_gt_u32_e64 s1, s18, v0
	s_mov_b32 s5, 0
	v_ashrrev_i32_e32 v4, 31, v3
	v_lshlrev_b64 v[3:4], 3, v[3:4]
	v_add_co_u32 v3, vcc_lo, s49, v3
	v_add_co_ci_u32_e64 v4, null, s50, v4, vcc_lo
	v_add_co_u32 v5, vcc_lo, v17, s16
	v_add_co_ci_u32_e64 v6, null, s17, v18, vcc_lo
	s_branch .LBB24_33
.LBB24_32:                              ;   in Loop: Header=BB24_33 Depth=2
	s_or_b32 exec_lo, exec_lo, s2
	s_add_i32 s2, s5, 1
	s_cmp_lg_u32 s5, s9
	s_mov_b32 s5, s2
	s_waitcnt_vscnt null, 0x0
	s_barrier
	buffer_gl0_inv
	s_cbranch_scc0 .LBB24_5
.LBB24_33:                              ;   Parent Loop BB24_6 Depth=1
                                        ; =>  This Loop Header: Depth=2
                                        ;       Child Loop BB24_35 Depth 3
                                        ;       Child Loop BB24_38 Depth 3
	s_add_i32 s8, s5, s4
	s_cmp_lt_i32 s5, s11
	v_mov_b32_e32 v7, 0
	v_mov_b32_e32 v8, 0
	s_cselect_b32 s15, -1, 0
	s_and_b32 s2, s15, s1
	s_and_saveexec_b32 s16, s2
	s_cbranch_execz .LBB24_37
; %bb.34:                               ;   in Loop: Header=BB24_33 Depth=2
	v_mov_b32_e32 v7, 0
	v_mov_b32_e32 v10, v6
	;; [unrolled: 1-line block ×7, first 2 shown]
	s_mov_b32 s17, 0
	.p2align	6
.LBB24_35:                              ;   Parent Loop BB24_6 Depth=1
                                        ;     Parent Loop BB24_33 Depth=2
                                        ; =>    This Inner Loop Header: Depth=3
	global_load_dword v21, v[9:10], off
	v_add_nc_u32_e32 v20, s40, v20
	v_add_co_u32 v9, s2, v9, s52
	v_add_co_ci_u32_e64 v10, null, 0, v10, s2
	s_waitcnt vmcnt(0)
	v_add_nc_u32_e32 v21, s4, v21
	v_mad_u64_u32 v[21:22], null, v21, s3, s[8:9]
	v_ashrrev_i32_e32 v22, 31, v21
	v_lshlrev_b64 v[21:22], 3, v[21:22]
	v_add_co_u32 v21, vcc_lo, s12, v21
	v_add_co_ci_u32_e64 v22, null, s13, v22, vcc_lo
	global_load_dwordx2 v[23:24], v[11:12], off
	global_load_dwordx2 v[21:22], v[21:22], off
	v_add_co_u32 v11, vcc_lo, v11, s51
	v_add_co_ci_u32_e64 v12, null, 0, v12, vcc_lo
	v_cmp_le_u32_e32 vcc_lo, s18, v20
	s_or_b32 s17, vcc_lo, s17
	s_waitcnt vmcnt(0)
	v_fma_f64 v[7:8], v[21:22], v[23:24], v[7:8]
	s_andn2_b32 exec_lo, exec_lo, s17
	s_cbranch_execnz .LBB24_35
; %bb.36:                               ;   in Loop: Header=BB24_33 Depth=2
	s_or_b32 exec_lo, exec_lo, s17
.LBB24_37:                              ;   in Loop: Header=BB24_33 Depth=2
	s_or_b32 exec_lo, exec_lo, s16
	s_andn2_b32 vcc_lo, exec_lo, s42
	s_mov_b32 s2, s40
	ds_write_b64 v13, v[7:8]
	s_waitcnt lgkmcnt(0)
	s_barrier
	buffer_gl0_inv
	s_cbranch_vccnz .LBB24_42
	.p2align	6
.LBB24_38:                              ;   Parent Loop BB24_6 Depth=1
                                        ;     Parent Loop BB24_33 Depth=2
                                        ; =>    This Inner Loop Header: Depth=3
	s_lshr_b32 s16, s2, 1
	v_cmp_gt_u32_e32 vcc_lo, s16, v0
	s_and_b32 s19, s15, vcc_lo
	s_and_saveexec_b32 s17, s19
	s_cbranch_execz .LBB24_40
; %bb.39:                               ;   in Loop: Header=BB24_38 Depth=3
	v_lshl_add_u32 v9, s16, 3, v13
	ds_read_b64 v[9:10], v9
	s_waitcnt lgkmcnt(0)
	v_add_f64 v[7:8], v[7:8], v[9:10]
	ds_write_b64 v13, v[7:8]
.LBB24_40:                              ;   in Loop: Header=BB24_38 Depth=3
	s_or_b32 exec_lo, exec_lo, s17
	s_cmp_lt_u32 s2, 4
	s_waitcnt lgkmcnt(0)
	s_barrier
	buffer_gl0_inv
	s_cbranch_scc1 .LBB24_42
; %bb.41:                               ;   in Loop: Header=BB24_38 Depth=3
	s_mov_b32 s2, s16
	s_branch .LBB24_38
.LBB24_42:                              ;   in Loop: Header=BB24_33 Depth=2
	s_and_b32 s15, s0, s15
	s_and_saveexec_b32 s2, s15
	s_cbranch_execz .LBB24_32
; %bb.43:                               ;   in Loop: Header=BB24_33 Depth=2
	v_div_scale_f64 v[9:10], null, v[1:2], v[1:2], v[7:8]
	s_add_i32 s16, s8, s14
	s_ashr_i32 s17, s16, 31
	s_lshl_b64 s[16:17], s[16:17], 3
	s_add_u32 s16, s37, s16
	s_addc_u32 s17, s38, s17
	v_rcp_f64_e32 v[11:12], v[9:10]
	v_fma_f64 v[20:21], -v[9:10], v[11:12], 1.0
	v_fma_f64 v[11:12], v[11:12], v[20:21], v[11:12]
	v_fma_f64 v[20:21], -v[9:10], v[11:12], 1.0
	v_fma_f64 v[11:12], v[11:12], v[20:21], v[11:12]
	v_div_scale_f64 v[20:21], vcc_lo, v[7:8], v[1:2], v[7:8]
	v_mul_f64 v[22:23], v[20:21], v[11:12]
	v_fma_f64 v[9:10], -v[9:10], v[22:23], v[20:21]
	v_div_fmas_f64 v[9:10], v[9:10], v[11:12], v[22:23]
	v_div_fixup_f64 v[7:8], v[9:10], v[1:2], v[7:8]
	global_store_dwordx2 v14, v[7:8], s[16:17]
	s_branch .LBB24_32
	.p2align	6
.LBB24_44:                              ;   in Loop: Header=BB24_45 Depth=2
	s_or_b32 exec_lo, exec_lo, s17
	s_cmp_lt_u32 s9, 4
	s_mov_b32 s9, s16
	s_waitcnt lgkmcnt(0)
	s_barrier
	buffer_gl0_inv
	s_cbranch_scc1 .LBB24_29
.LBB24_45:                              ;   Parent Loop BB24_6 Depth=1
                                        ; =>  This Inner Loop Header: Depth=2
	s_lshr_b32 s16, s9, 1
	s_mov_b32 s17, exec_lo
	v_cmpx_gt_u32_e64 s16, v0
	s_cbranch_execz .LBB24_44
; %bb.46:                               ;   in Loop: Header=BB24_45 Depth=2
	v_lshl_add_u32 v3, s16, 3, v13
	ds_read_b64 v[3:4], v3
	s_waitcnt lgkmcnt(0)
	v_add_f64 v[1:2], v[1:2], v[3:4]
	ds_write_b64 v13, v[1:2]
	s_branch .LBB24_44
.LBB24_47:
	s_endpgm
	.section	.rodata,"a",@progbits
	.p2align	6, 0x0
	.amdhsa_kernel _ZN9rocsolver6v33100L26stedcx_mergeVectors_kernelILb0EdEEviiPT0_lS3_lS3_iilS3_S3_Pi
		.amdhsa_group_segment_fixed_size 0
		.amdhsa_private_segment_fixed_size 0
		.amdhsa_kernarg_size 344
		.amdhsa_user_sgpr_count 6
		.amdhsa_user_sgpr_private_segment_buffer 1
		.amdhsa_user_sgpr_dispatch_ptr 0
		.amdhsa_user_sgpr_queue_ptr 0
		.amdhsa_user_sgpr_kernarg_segment_ptr 1
		.amdhsa_user_sgpr_dispatch_id 0
		.amdhsa_user_sgpr_flat_scratch_init 0
		.amdhsa_user_sgpr_private_segment_size 0
		.amdhsa_wavefront_size32 1
		.amdhsa_uses_dynamic_stack 0
		.amdhsa_system_sgpr_private_segment_wavefront_offset 0
		.amdhsa_system_sgpr_workgroup_id_x 1
		.amdhsa_system_sgpr_workgroup_id_y 1
		.amdhsa_system_sgpr_workgroup_id_z 1
		.amdhsa_system_sgpr_workgroup_info 0
		.amdhsa_system_vgpr_workitem_id 0
		.amdhsa_next_free_vgpr 30
		.amdhsa_next_free_sgpr 58
		.amdhsa_reserve_vcc 1
		.amdhsa_reserve_flat_scratch 0
		.amdhsa_float_round_mode_32 0
		.amdhsa_float_round_mode_16_64 0
		.amdhsa_float_denorm_mode_32 3
		.amdhsa_float_denorm_mode_16_64 3
		.amdhsa_dx10_clamp 1
		.amdhsa_ieee_mode 1
		.amdhsa_fp16_overflow 0
		.amdhsa_workgroup_processor_mode 1
		.amdhsa_memory_ordered 1
		.amdhsa_forward_progress 1
		.amdhsa_shared_vgpr_count 0
		.amdhsa_exception_fp_ieee_invalid_op 0
		.amdhsa_exception_fp_denorm_src 0
		.amdhsa_exception_fp_ieee_div_zero 0
		.amdhsa_exception_fp_ieee_overflow 0
		.amdhsa_exception_fp_ieee_underflow 0
		.amdhsa_exception_fp_ieee_inexact 0
		.amdhsa_exception_int_div_zero 0
	.end_amdhsa_kernel
	.section	.text._ZN9rocsolver6v33100L26stedcx_mergeVectors_kernelILb0EdEEviiPT0_lS3_lS3_iilS3_S3_Pi,"axG",@progbits,_ZN9rocsolver6v33100L26stedcx_mergeVectors_kernelILb0EdEEviiPT0_lS3_lS3_iilS3_S3_Pi,comdat
.Lfunc_end24:
	.size	_ZN9rocsolver6v33100L26stedcx_mergeVectors_kernelILb0EdEEviiPT0_lS3_lS3_iilS3_S3_Pi, .Lfunc_end24-_ZN9rocsolver6v33100L26stedcx_mergeVectors_kernelILb0EdEEviiPT0_lS3_lS3_iilS3_S3_Pi
                                        ; -- End function
	.set _ZN9rocsolver6v33100L26stedcx_mergeVectors_kernelILb0EdEEviiPT0_lS3_lS3_iilS3_S3_Pi.num_vgpr, 30
	.set _ZN9rocsolver6v33100L26stedcx_mergeVectors_kernelILb0EdEEviiPT0_lS3_lS3_iilS3_S3_Pi.num_agpr, 0
	.set _ZN9rocsolver6v33100L26stedcx_mergeVectors_kernelILb0EdEEviiPT0_lS3_lS3_iilS3_S3_Pi.numbered_sgpr, 58
	.set _ZN9rocsolver6v33100L26stedcx_mergeVectors_kernelILb0EdEEviiPT0_lS3_lS3_iilS3_S3_Pi.num_named_barrier, 0
	.set _ZN9rocsolver6v33100L26stedcx_mergeVectors_kernelILb0EdEEviiPT0_lS3_lS3_iilS3_S3_Pi.private_seg_size, 0
	.set _ZN9rocsolver6v33100L26stedcx_mergeVectors_kernelILb0EdEEviiPT0_lS3_lS3_iilS3_S3_Pi.uses_vcc, 1
	.set _ZN9rocsolver6v33100L26stedcx_mergeVectors_kernelILb0EdEEviiPT0_lS3_lS3_iilS3_S3_Pi.uses_flat_scratch, 0
	.set _ZN9rocsolver6v33100L26stedcx_mergeVectors_kernelILb0EdEEviiPT0_lS3_lS3_iilS3_S3_Pi.has_dyn_sized_stack, 0
	.set _ZN9rocsolver6v33100L26stedcx_mergeVectors_kernelILb0EdEEviiPT0_lS3_lS3_iilS3_S3_Pi.has_recursion, 0
	.set _ZN9rocsolver6v33100L26stedcx_mergeVectors_kernelILb0EdEEviiPT0_lS3_lS3_iilS3_S3_Pi.has_indirect_call, 0
	.section	.AMDGPU.csdata,"",@progbits
; Kernel info:
; codeLenInByte = 2848
; TotalNumSgprs: 60
; NumVgprs: 30
; ScratchSize: 0
; MemoryBound: 0
; FloatMode: 240
; IeeeMode: 1
; LDSByteSize: 0 bytes/workgroup (compile time only)
; SGPRBlocks: 0
; VGPRBlocks: 3
; NumSGPRsForWavesPerEU: 60
; NumVGPRsForWavesPerEU: 30
; Occupancy: 16
; WaveLimiterHint : 1
; COMPUTE_PGM_RSRC2:SCRATCH_EN: 0
; COMPUTE_PGM_RSRC2:USER_SGPR: 6
; COMPUTE_PGM_RSRC2:TRAP_HANDLER: 0
; COMPUTE_PGM_RSRC2:TGID_X_EN: 1
; COMPUTE_PGM_RSRC2:TGID_Y_EN: 1
; COMPUTE_PGM_RSRC2:TGID_Z_EN: 1
; COMPUTE_PGM_RSRC2:TIDIG_COMP_CNT: 0
	.section	.text._ZN9rocsolver6v33100L25stedcx_mergeUpdate_kernelIdEEviiPT_lS3_iilS3_S3_Pi,"axG",@progbits,_ZN9rocsolver6v33100L25stedcx_mergeUpdate_kernelIdEEviiPT_lS3_iilS3_S3_Pi,comdat
	.globl	_ZN9rocsolver6v33100L25stedcx_mergeUpdate_kernelIdEEviiPT_lS3_iilS3_S3_Pi ; -- Begin function _ZN9rocsolver6v33100L25stedcx_mergeUpdate_kernelIdEEviiPT_lS3_iilS3_S3_Pi
	.p2align	8
	.type	_ZN9rocsolver6v33100L25stedcx_mergeUpdate_kernelIdEEviiPT_lS3_iilS3_S3_Pi,@function
_ZN9rocsolver6v33100L25stedcx_mergeUpdate_kernelIdEEviiPT_lS3_iilS3_S3_Pi: ; @_ZN9rocsolver6v33100L25stedcx_mergeUpdate_kernelIdEEviiPT_lS3_iilS3_S3_Pi
; %bb.0:
	s_clause 0x1
	s_load_dwordx4 s[0:3], s[4:5], 0x18
	s_load_dwordx8 s[12:19], s[4:5], 0x28
	s_mov_b32 s10, s7
	s_waitcnt lgkmcnt(0)
	s_cmp_lg_u64 s[0:1], 0
	s_cbranch_scc0 .LBB25_27
; %bb.1:
	s_ashr_i32 s9, s8, 31
	s_mul_hi_u32 s7, s12, s8
	s_mul_i32 s11, s12, s9
	s_mul_i32 s13, s13, s8
	s_add_i32 s7, s7, s11
	s_mul_i32 s12, s12, s8
	s_add_i32 s13, s7, s13
	s_ashr_i32 s21, s2, 31
	s_lshl_b64 s[12:13], s[12:13], 3
	s_mov_b32 s20, s2
	s_add_u32 s2, s0, s12
	s_addc_u32 s7, s1, s13
	s_lshl_b64 s[0:1], s[20:21], 3
	s_add_u32 s12, s2, s0
	s_addc_u32 s13, s7, s1
	s_cbranch_execnz .LBB25_3
.LBB25_2:
	s_ashr_i32 s9, s8, 31
                                        ; implicit-def: $sgpr12_sgpr13
.LBB25_3:
	s_load_dwordx2 s[20:21], s[4:5], 0x0
	s_waitcnt lgkmcnt(0)
	s_mul_i32 s0, s21, 5
	s_add_i32 s0, s0, 2
	s_mul_i32 s0, s0, s8
	s_ashr_i32 s1, s0, 31
	s_lshl_b64 s[24:25], s[0:1], 2
	s_mov_b32 s0, s21
	s_add_u32 s2, s18, s24
	s_addc_u32 s7, s19, s25
	s_ashr_i32 s1, s21, 31
	s_lshl_b64 s[26:27], s[0:1], 2
	s_add_u32 s22, s2, s26
	s_addc_u32 s23, s7, s27
	s_load_dword s28, s[22:23], 0x4
	s_waitcnt lgkmcnt(0)
	s_cmp_ge_i32 s10, s28
	s_cbranch_scc1 .LBB25_26
; %bb.4:
	s_clause 0x1
	s_load_dwordx4 s[36:39], s[4:5], 0x8
	s_load_dword s11, s[4:5], 0x54
	v_mov_b32_e32 v4, 0
	s_waitcnt lgkmcnt(0)
	s_mul_i32 s4, s38, s9
	s_mul_hi_u32 s5, s38, s8
	s_mul_i32 s9, s39, s8
	s_add_i32 s5, s5, s4
	s_mul_i32 s4, s38, s8
	s_add_i32 s5, s5, s9
	s_mul_i32 s8, s8, s21
	s_lshl_b64 s[4:5], s[4:5], 3
	s_add_u32 s29, s36, s4
	s_addc_u32 s30, s37, s5
	s_add_u32 s31, s22, s26
	s_addc_u32 s33, s23, s27
	s_add_u32 s34, s31, s26
	s_addc_u32 s35, s33, s27
	s_lshl_b32 s4, s8, 1
	s_ashr_i32 s5, s4, 31
	s_lshl_b64 s[8:9], s[4:5], 3
	s_mul_i32 s4, s4, s21
	s_add_u32 s5, s14, s8
	s_addc_u32 s8, s15, s9
	s_lshl_b64 s[0:1], s[0:1], 3
	s_add_u32 s36, s5, s0
	s_addc_u32 s37, s8, s1
	s_lshl_b32 s38, 2, s20
	s_ashr_i32 s5, s4, 31
	v_cvt_f32_u32_e32 v1, s38
	s_and_b32 s39, 0xffff, s11
	s_ashr_i32 s40, s6, 31
	s_abs_i32 s41, s6
	s_add_u32 s1, s26, s24
	v_rcp_iflag_f32_e32 v1, v1
	s_addc_u32 s8, s27, s25
	s_add_u32 s1, s18, s1
	s_addc_u32 s8, s19, s8
	s_add_u32 s24, s1, 8
	v_cmp_eq_u32_e64 s0, 0, v0
	s_addc_u32 s25, s8, 0
	s_lshl_b64 s[4:5], s[4:5], 3
	s_lshl_b32 s26, s39, 3
	s_add_u32 s27, s16, s4
	v_mul_f32_e32 v1, 0x4f7ffffe, v1
	s_addc_u32 s42, s17, s5
	s_sub_i32 s43, 0, s38
	v_cvt_u32_f32_e32 v5, v1
	s_branch .LBB25_7
.LBB25_5:                               ;   in Loop: Header=BB25_7 Depth=1
	s_or_b32 exec_lo, exec_lo, s8
.LBB25_6:                               ;   in Loop: Header=BB25_7 Depth=1
	s_add_i32 s10, s10, 8
	s_cmp_ge_i32 s10, s28
	s_cbranch_scc1 .LBB25_26
.LBB25_7:                               ; =>This Loop Header: Depth=1
                                        ;     Child Loop BB25_15 Depth 2
                                        ;     Child Loop BB25_18 Depth 2
	;; [unrolled: 1-line block ×3, first 2 shown]
	s_ashr_i32 s11, s10, 31
	s_lshl_b64 s[4:5], s[10:11], 2
	s_barrier
	s_add_u32 s4, s2, s4
	s_addc_u32 s5, s7, s5
	s_waitcnt vmcnt(0)
	buffer_gl0_inv
	global_load_dwordx2 v[1:2], v4, s[4:5]
	s_mov_b32 s5, 0
	s_waitcnt vmcnt(0)
	v_readfirstlane_b32 s4, v1
	v_readfirstlane_b32 s1, v2
	s_sub_i32 s1, s1, s4
	s_cmp_lt_i32 s1, 3
	s_cbranch_scc1 .LBB25_12
; %bb.8:                                ;   in Loop: Header=BB25_7 Depth=1
	s_cmp_lt_u32 s1, 5
	s_mov_b32 s5, 1
	s_cbranch_scc1 .LBB25_12
; %bb.9:                                ;   in Loop: Header=BB25_7 Depth=1
	s_cmp_lt_u32 s1, 33
	s_mov_b32 s5, 2
	s_cbranch_scc1 .LBB25_12
; %bb.10:                               ;   in Loop: Header=BB25_7 Depth=1
	s_cmpk_lt_u32 s1, 0xe9
	s_mov_b32 s5, 4
	s_cbranch_scc1 .LBB25_12
; %bb.11:                               ;   in Loop: Header=BB25_7 Depth=1
	s_cmpk_lt_u32 s1, 0x128
	s_cselect_b32 s5, 5, 7
	s_cmpk_lt_u32 s1, 0x79b
	s_cselect_b32 s5, s5, 8
.LBB25_12:                              ;   in Loop: Header=BB25_7 Depth=1
	s_lshl_b32 s8, 1, s5
	s_add_i32 s1, s1, -1
	v_cvt_f32_u32_e32 v1, s8
	s_sub_i32 s11, 0, s8
	s_ashr_i32 s14, s1, 31
	s_add_i32 s1, s1, s14
	v_rcp_iflag_f32_e32 v1, v1
	s_xor_b32 s1, s1, s14
	v_mul_f32_e32 v1, 0x4f7ffffe, v1
	v_cvt_u32_f32_e32 v1, v1
	v_readfirstlane_b32 s9, v1
	s_mul_i32 s11, s11, s9
	s_mul_hi_u32 s11, s9, s11
	s_add_i32 s9, s9, s11
	s_mul_hi_u32 s9, s1, s9
	s_mul_i32 s11, s9, s8
	s_sub_i32 s1, s1, s11
	s_add_i32 s11, s9, 1
	s_sub_i32 s15, s1, s8
	s_cmp_ge_u32 s1, s8
	s_cselect_b32 s9, s11, s9
	s_cselect_b32 s1, s15, s1
	s_add_i32 s11, s9, 1
	s_cmp_ge_u32 s1, s8
	s_cselect_b32 s1, s11, s9
	s_xor_b32 s1, s1, s14
	s_sub_i32 s1, s1, s14
	s_add_i32 s1, s1, 1
	s_lshl_b32 s8, s1, s5
	s_cmp_ge_i32 s6, s8
	s_cselect_b32 s8, -1, 0
	s_cmp_ge_i32 s20, s5
	s_cselect_b32 s5, -1, 0
	s_or_b32 s5, s5, s8
	s_and_b32 vcc_lo, exec_lo, s5
	s_cbranch_vccnz .LBB25_6
; %bb.13:                               ;   in Loop: Header=BB25_7 Depth=1
	s_ashr_i32 s5, s4, 31
	s_lshl_b64 s[4:5], s[4:5], 2
	s_add_u32 s11, s22, s4
	s_addc_u32 s17, s23, s5
	s_add_u32 s46, s31, s4
	s_addc_u32 s47, s33, s5
	s_abs_i32 s8, s1
	v_cvt_f32_u32_e32 v1, s8
	s_sub_i32 s14, 0, s8
	v_rcp_iflag_f32_e32 v1, v1
	v_mul_f32_e32 v1, 0x4f7ffffe, v1
	v_cvt_u32_f32_e32 v1, v1
	v_readfirstlane_b32 s9, v1
	s_mul_i32 s14, s14, s9
	s_mul_hi_u32 s14, s9, s14
	s_add_i32 s9, s9, s14
	s_ashr_i32 s14, s1, 31
	s_mul_hi_u32 s9, s41, s9
	s_xor_b32 s14, s40, s14
	s_mul_i32 s15, s9, s8
	s_add_i32 s16, s9, 1
	s_sub_i32 s15, s41, s15
	s_sub_i32 s18, s15, s8
	s_cmp_ge_u32 s15, s8
	s_cselect_b32 s9, s16, s9
	s_cselect_b32 s15, s18, s15
	s_add_i32 s16, s9, 1
	s_cmp_ge_u32 s15, s8
	s_cselect_b32 s8, s16, s9
	v_readfirstlane_b32 s16, v5
	s_xor_b32 s8, s8, s14
	s_sub_i32 s8, s8, s14
	s_ashr_i32 s9, s8, 31
	s_mul_i32 s44, s43, s16
	s_lshl_b64 s[14:15], s[8:9], 2
	s_mul_hi_u32 s44, s16, s44
	s_add_u32 s18, s46, s14
	s_addc_u32 s19, s47, s15
	s_add_i32 s45, s8, s9
	s_add_i32 s16, s16, s44
	s_xor_b32 s45, s45, s9
	s_mul_hi_u32 s16, s45, s16
	s_mul_i32 s16, s16, s38
	s_sub_i32 s16, s45, s16
	s_sub_i32 s44, s16, s38
	s_cmp_ge_u32 s16, s38
	s_cselect_b32 s16, s44, s16
	s_sub_i32 s44, s16, s38
	s_cmp_ge_u32 s16, s38
	s_cselect_b32 s16, s44, s16
	s_xor_b32 s16, s16, s9
	s_sub_i32 s16, s16, s9
	s_sub_i32 s44, s8, s16
	s_ashr_i32 s45, s44, 31
	s_lshl_b64 s[44:45], s[44:45], 2
	s_add_u32 s44, s46, s44
	s_addc_u32 s45, s47, s45
	s_add_u32 s46, s11, s14
	s_addc_u32 s47, s17, s15
	s_clause 0x2
	global_load_dword v2, v4, s[46:47] offset:8
	global_load_dword v1, v4, s[18:19] offset:8
	;; [unrolled: 1-line block ×3, first 2 shown]
	s_cmp_lt_i32 s16, 1
	s_waitcnt vmcnt(2)
	v_mov_b32_e32 v7, v2
	s_cbranch_scc1 .LBB25_16
; %bb.14:                               ;   in Loop: Header=BB25_7 Depth=1
	s_add_i32 s9, s16, 1
	s_add_u32 s11, s4, s14
	s_addc_u32 s44, s5, s15
	s_ashr_i32 s17, s16, 31
	v_mov_b32_e32 v7, v2
	s_lshl_b64 s[18:19], s[16:17], 2
	s_sub_u32 s11, s11, s18
	s_subb_u32 s17, s44, s19
	s_add_u32 s18, s24, s11
	s_addc_u32 s19, s25, s17
.LBB25_15:                              ;   Parent Loop BB25_7 Depth=1
                                        ; =>  This Inner Loop Header: Depth=2
	global_load_dword v3, v4, s[18:19]
	s_add_i32 s9, s9, -1
	s_add_u32 s18, s18, 4
	s_addc_u32 s19, s19, 0
	s_cmp_lt_u32 s9, 2
	s_waitcnt vmcnt(0)
	v_add_nc_u32_e32 v7, v3, v7
	s_cbranch_scc0 .LBB25_15
.LBB25_16:                              ;   in Loop: Header=BB25_7 Depth=1
	s_not_b32 s9, s16
	s_add_i32 s18, s38, s9
	s_cmp_lt_i32 s18, 1
	s_cbranch_scc1 .LBB25_19
; %bb.17:                               ;   in Loop: Header=BB25_7 Depth=1
	s_ashr_i32 s19, s18, 31
	s_lshl_b64 s[18:19], s[18:19], 2
	s_add_u32 s4, s4, s18
	s_addc_u32 s5, s5, s19
	s_add_u32 s4, s4, s14
	s_addc_u32 s5, s5, s15
	;; [unrolled: 2-line block ×3, first 2 shown]
	s_sub_i32 s9, s38, s16
.LBB25_18:                              ;   Parent Loop BB25_7 Depth=1
                                        ; =>  This Inner Loop Header: Depth=2
	global_load_dword v3, v4, s[4:5]
	s_add_u32 s4, s4, -4
	s_addc_u32 s5, s5, -1
	s_add_i32 s9, s9, -1
	s_cmp_lt_u32 s9, 2
	s_waitcnt vmcnt(0)
	v_add_nc_u32_e32 v7, v3, v7
	s_cbranch_scc0 .LBB25_18
.LBB25_19:                              ;   in Loop: Header=BB25_7 Depth=1
	s_mul_i32 s1, s8, s1
	s_sub_i32 s1, s6, s1
	v_cmp_lt_i32_e32 vcc_lo, s1, v2
	s_cbranch_vccz .LBB25_6
; %bb.20:                               ;   in Loop: Header=BB25_7 Depth=1
	s_waitcnt vmcnt(1)
	v_add_nc_u32_e32 v2, s1, v1
	v_ashrrev_i32_e32 v3, 31, v2
	v_lshlrev_b64 v[8:9], 2, v[2:3]
	v_add_co_u32 v8, vcc_lo, s34, v8
	v_add_co_ci_u32_e64 v9, null, s35, v9, vcc_lo
	global_load_dword v1, v[8:9], off offset:8
	s_waitcnt vmcnt(0)
	v_cmp_ne_u32_e32 vcc_lo, 1, v1
	s_cbranch_vccnz .LBB25_6
; %bb.21:                               ;   in Loop: Header=BB25_7 Depth=1
	s_and_saveexec_b32 s1, s0
	s_cbranch_execz .LBB25_23
; %bb.22:                               ;   in Loop: Header=BB25_7 Depth=1
	v_lshlrev_b64 v[8:9], 3, v[2:3]
	v_add_co_u32 v10, vcc_lo, s36, v8
	v_add_co_ci_u32_e64 v11, null, s37, v9, vcc_lo
	v_add_co_u32 v8, vcc_lo, s29, v8
	v_add_co_ci_u32_e64 v9, null, s30, v9, vcc_lo
	global_load_dwordx2 v[10:11], v[10:11], off
	s_waitcnt vmcnt(0)
	global_store_dwordx2 v[8:9], v[10:11], off
.LBB25_23:                              ;   in Loop: Header=BB25_7 Depth=1
	s_or_b32 exec_lo, exec_lo, s1
	s_mov_b32 s8, exec_lo
	v_cmpx_lt_i32_e64 v0, v7
	s_cbranch_execz .LBB25_5
; %bb.24:                               ;   in Loop: Header=BB25_7 Depth=1
	v_add_nc_u32_e32 v1, v6, v0
	s_mov_b64 s[4:5], 0
	s_mov_b32 s9, 0
	v_mad_u64_u32 v[8:9], null, v2, s3, v[1:2]
	v_mad_u64_u32 v[10:11], null, v2, s21, v[1:2]
	v_add_nc_u32_e32 v2, v7, v6
	v_ashrrev_i32_e32 v9, 31, v8
	v_ashrrev_i32_e32 v11, 31, v10
	v_lshlrev_b64 v[8:9], 3, v[8:9]
	v_lshlrev_b64 v[10:11], 3, v[10:11]
	v_add_co_u32 v3, vcc_lo, s12, v8
	v_add_co_ci_u32_e64 v6, null, s13, v9, vcc_lo
	v_add_co_u32 v7, vcc_lo, s27, v10
	v_add_co_ci_u32_e64 v8, null, s42, v11, vcc_lo
	.p2align	6
.LBB25_25:                              ;   Parent Loop BB25_7 Depth=1
                                        ; =>  This Inner Loop Header: Depth=2
	v_add_co_u32 v9, vcc_lo, v7, s4
	v_add_co_ci_u32_e64 v10, null, s5, v8, vcc_lo
	v_add_nc_u32_e32 v1, s39, v1
	v_add_co_u32 v11, vcc_lo, v3, s4
	global_load_dwordx2 v[9:10], v[9:10], off
	v_add_co_ci_u32_e64 v12, null, s5, v6, vcc_lo
	v_cmp_ge_i32_e64 s1, v1, v2
	s_add_u32 s4, s4, s26
	s_addc_u32 s5, s5, 0
	s_or_b32 s9, s1, s9
	s_waitcnt vmcnt(0)
	global_store_dwordx2 v[11:12], v[9:10], off
	s_andn2_b32 exec_lo, exec_lo, s9
	s_cbranch_execnz .LBB25_25
	s_branch .LBB25_5
.LBB25_26:
	s_endpgm
.LBB25_27:
                                        ; implicit-def: $sgpr12_sgpr13
                                        ; implicit-def: $sgpr9
	s_branch .LBB25_2
	.section	.rodata,"a",@progbits
	.p2align	6, 0x0
	.amdhsa_kernel _ZN9rocsolver6v33100L25stedcx_mergeUpdate_kernelIdEEviiPT_lS3_iilS3_S3_Pi
		.amdhsa_group_segment_fixed_size 0
		.amdhsa_private_segment_fixed_size 0
		.amdhsa_kernarg_size 328
		.amdhsa_user_sgpr_count 6
		.amdhsa_user_sgpr_private_segment_buffer 1
		.amdhsa_user_sgpr_dispatch_ptr 0
		.amdhsa_user_sgpr_queue_ptr 0
		.amdhsa_user_sgpr_kernarg_segment_ptr 1
		.amdhsa_user_sgpr_dispatch_id 0
		.amdhsa_user_sgpr_flat_scratch_init 0
		.amdhsa_user_sgpr_private_segment_size 0
		.amdhsa_wavefront_size32 1
		.amdhsa_uses_dynamic_stack 0
		.amdhsa_system_sgpr_private_segment_wavefront_offset 0
		.amdhsa_system_sgpr_workgroup_id_x 1
		.amdhsa_system_sgpr_workgroup_id_y 1
		.amdhsa_system_sgpr_workgroup_id_z 1
		.amdhsa_system_sgpr_workgroup_info 0
		.amdhsa_system_vgpr_workitem_id 0
		.amdhsa_next_free_vgpr 13
		.amdhsa_next_free_sgpr 48
		.amdhsa_reserve_vcc 1
		.amdhsa_reserve_flat_scratch 0
		.amdhsa_float_round_mode_32 0
		.amdhsa_float_round_mode_16_64 0
		.amdhsa_float_denorm_mode_32 3
		.amdhsa_float_denorm_mode_16_64 3
		.amdhsa_dx10_clamp 1
		.amdhsa_ieee_mode 1
		.amdhsa_fp16_overflow 0
		.amdhsa_workgroup_processor_mode 1
		.amdhsa_memory_ordered 1
		.amdhsa_forward_progress 1
		.amdhsa_shared_vgpr_count 0
		.amdhsa_exception_fp_ieee_invalid_op 0
		.amdhsa_exception_fp_denorm_src 0
		.amdhsa_exception_fp_ieee_div_zero 0
		.amdhsa_exception_fp_ieee_overflow 0
		.amdhsa_exception_fp_ieee_underflow 0
		.amdhsa_exception_fp_ieee_inexact 0
		.amdhsa_exception_int_div_zero 0
	.end_amdhsa_kernel
	.section	.text._ZN9rocsolver6v33100L25stedcx_mergeUpdate_kernelIdEEviiPT_lS3_iilS3_S3_Pi,"axG",@progbits,_ZN9rocsolver6v33100L25stedcx_mergeUpdate_kernelIdEEviiPT_lS3_iilS3_S3_Pi,comdat
.Lfunc_end25:
	.size	_ZN9rocsolver6v33100L25stedcx_mergeUpdate_kernelIdEEviiPT_lS3_iilS3_S3_Pi, .Lfunc_end25-_ZN9rocsolver6v33100L25stedcx_mergeUpdate_kernelIdEEviiPT_lS3_iilS3_S3_Pi
                                        ; -- End function
	.set _ZN9rocsolver6v33100L25stedcx_mergeUpdate_kernelIdEEviiPT_lS3_iilS3_S3_Pi.num_vgpr, 13
	.set _ZN9rocsolver6v33100L25stedcx_mergeUpdate_kernelIdEEviiPT_lS3_iilS3_S3_Pi.num_agpr, 0
	.set _ZN9rocsolver6v33100L25stedcx_mergeUpdate_kernelIdEEviiPT_lS3_iilS3_S3_Pi.numbered_sgpr, 48
	.set _ZN9rocsolver6v33100L25stedcx_mergeUpdate_kernelIdEEviiPT_lS3_iilS3_S3_Pi.num_named_barrier, 0
	.set _ZN9rocsolver6v33100L25stedcx_mergeUpdate_kernelIdEEviiPT_lS3_iilS3_S3_Pi.private_seg_size, 0
	.set _ZN9rocsolver6v33100L25stedcx_mergeUpdate_kernelIdEEviiPT_lS3_iilS3_S3_Pi.uses_vcc, 1
	.set _ZN9rocsolver6v33100L25stedcx_mergeUpdate_kernelIdEEviiPT_lS3_iilS3_S3_Pi.uses_flat_scratch, 0
	.set _ZN9rocsolver6v33100L25stedcx_mergeUpdate_kernelIdEEviiPT_lS3_iilS3_S3_Pi.has_dyn_sized_stack, 0
	.set _ZN9rocsolver6v33100L25stedcx_mergeUpdate_kernelIdEEviiPT_lS3_iilS3_S3_Pi.has_recursion, 0
	.set _ZN9rocsolver6v33100L25stedcx_mergeUpdate_kernelIdEEviiPT_lS3_iilS3_S3_Pi.has_indirect_call, 0
	.section	.AMDGPU.csdata,"",@progbits
; Kernel info:
; codeLenInByte = 1504
; TotalNumSgprs: 50
; NumVgprs: 13
; ScratchSize: 0
; MemoryBound: 0
; FloatMode: 240
; IeeeMode: 1
; LDSByteSize: 0 bytes/workgroup (compile time only)
; SGPRBlocks: 0
; VGPRBlocks: 1
; NumSGPRsForWavesPerEU: 50
; NumVGPRsForWavesPerEU: 13
; Occupancy: 16
; WaveLimiterHint : 1
; COMPUTE_PGM_RSRC2:SCRATCH_EN: 0
; COMPUTE_PGM_RSRC2:USER_SGPR: 6
; COMPUTE_PGM_RSRC2:TRAP_HANDLER: 0
; COMPUTE_PGM_RSRC2:TGID_X_EN: 1
; COMPUTE_PGM_RSRC2:TGID_Y_EN: 1
; COMPUTE_PGM_RSRC2:TGID_Z_EN: 1
; COMPUTE_PGM_RSRC2:TIDIG_COMP_CNT: 0
	.section	.text._ZN9rocsolver6v33100L23stedcx_synthesis_kernelIdEEv15rocblas_erange_iiiPT_lPiS4_lS4_iliS5_S4_S3_,"axG",@progbits,_ZN9rocsolver6v33100L23stedcx_synthesis_kernelIdEEv15rocblas_erange_iiiPT_lPiS4_lS4_iliS5_S4_S3_,comdat
	.globl	_ZN9rocsolver6v33100L23stedcx_synthesis_kernelIdEEv15rocblas_erange_iiiPT_lPiS4_lS4_iliS5_S4_S3_ ; -- Begin function _ZN9rocsolver6v33100L23stedcx_synthesis_kernelIdEEv15rocblas_erange_iiiPT_lPiS4_lS4_iliS5_S4_S3_
	.p2align	8
	.type	_ZN9rocsolver6v33100L23stedcx_synthesis_kernelIdEEv15rocblas_erange_iiiPT_lPiS4_lS4_iliS5_S4_S3_,@function
_ZN9rocsolver6v33100L23stedcx_synthesis_kernelIdEEv15rocblas_erange_iiiPT_lPiS4_lS4_iliS5_S4_S3_: ; @_ZN9rocsolver6v33100L23stedcx_synthesis_kernelIdEEv15rocblas_erange_iiiPT_lPiS4_lS4_iliS5_S4_S3_
; %bb.0:
	s_clause 0x3
	s_load_dword s6, s[4:5], 0x7c
	s_load_dwordx8 s[12:19], s[4:5], 0x10
	s_load_dwordx4 s[8:11], s[4:5], 0x30
	s_load_dwordx4 s[0:3], s[4:5], 0x0
	s_ashr_i32 s21, s7, 31
	s_mov_b32 s20, s7
	s_waitcnt lgkmcnt(0)
	s_and_b32 s33, s6, 0xffff
	s_mul_hi_u32 s7, s14, s7
	s_mul_i32 s22, s14, s21
	s_mul_i32 s15, s15, s20
	s_add_i32 s7, s7, s22
	s_mul_i32 s6, s14, s20
	s_add_i32 s7, s7, s15
	s_mul_hi_u32 s14, s8, s20
	s_lshl_b64 s[6:7], s[6:7], 3
	s_mul_i32 s15, s8, s21
	s_add_u32 s6, s12, s6
	s_mul_i32 s9, s9, s20
	s_addc_u32 s7, s13, s7
	s_add_i32 s12, s14, s15
	s_mul_i32 s8, s8, s20
	s_add_i32 s9, s12, s9
	s_mov_b32 s12, -1
	s_lshl_b64 s[8:9], s[8:9], 3
	s_add_u32 s40, s18, s8
	s_addc_u32 s41, s19, s9
	s_lshl_b64 s[8:9], s[20:21], 2
	s_add_u32 s8, s16, s8
	s_addc_u32 s9, s17, s9
	s_cmpk_lg_i32 s0, 0xe7
	s_cbranch_scc0 .LBB26_52
; %bb.1:
	s_load_dwordx4 s[16:19], s[4:5], 0x58
	s_mul_i32 s12, s1, 5
	s_mov_b32 s30, s1
	s_add_i32 s12, s12, 2
	s_mov_b32 s44, exec_lo
	s_mul_i32 s12, s12, s20
	s_ashr_i32 s13, s12, 31
	s_lshl_b64 s[34:35], s[12:13], 2
	s_waitcnt lgkmcnt(0)
	s_add_u32 s12, s16, s34
	s_addc_u32 s13, s17, s35
	s_ashr_i32 s31, s1, 31
	s_lshl_b64 s[36:37], s[30:31], 2
	s_add_u32 s45, s12, s36
	s_addc_u32 s46, s13, s37
	s_lshl_b32 s12, s1, 1
	s_ashr_i32 s13, s12, 31
	s_lshl_b64 s[38:39], s[12:13], 2
	s_add_u32 s42, s45, s38
	s_addc_u32 s43, s46, s39
	v_cmpx_eq_u32_e32 0, v0
	s_cbranch_execz .LBB26_43
; %bb.2:
	s_lshl_b32 s49, s1, 2
	s_or_b32 s12, s49, 2
	s_mul_i32 s12, s12, s20
	s_ashr_i32 s13, s12, 31
	s_lshl_b64 s[12:13], s[12:13], 3
	s_add_u32 s22, s18, s12
	s_addc_u32 s23, s19, s13
	s_cmp_gt_i32 s1, 0
	s_load_dwordx4 s[12:15], s[22:23], 0x0
	s_cselect_b32 s50, -1, 0
	s_cmpk_eq_i32 s0, 0xe9
	s_cbranch_scc1 .LBB26_8
; %bb.3:
	s_mov_b32 s47, 0
	s_andn2_b32 vcc_lo, exec_lo, s50
	s_mov_b32 s28, 0
	s_cbranch_vccnz .LBB26_9
; %bb.4:
	s_add_u32 s0, s36, s34
	s_addc_u32 s24, s37, s35
	s_add_u32 s0, s0, s38
	s_addc_u32 s24, s24, s39
	s_add_u32 s0, s16, s0
	v_mov_b32_e32 v3, 0
	v_mov_b32_e32 v4, 1
	s_addc_u32 s25, s17, s24
	s_add_u32 s24, s0, 8
	s_addc_u32 s25, s25, 0
	s_mov_b64 s[26:27], s[6:7]
	s_mov_b32 s48, s30
	s_inst_prefetch 0x1
	s_branch .LBB26_6
	.p2align	6
.LBB26_5:                               ;   in Loop: Header=BB26_6 Depth=1
	s_add_i32 s48, s48, -1
	s_add_u32 s24, s24, 4
	s_addc_u32 s25, s25, 0
	s_add_u32 s26, s26, 8
	s_addc_u32 s27, s27, 0
	s_cmp_eq_u32 s48, 0
	s_cbranch_scc1 .LBB26_9
.LBB26_6:                               ; =>This Inner Loop Header: Depth=1
	global_load_dwordx2 v[1:2], v3, s[26:27]
	global_store_dword v3, v3, s[24:25]
	s_waitcnt vmcnt(0) lgkmcnt(0)
	v_cmp_nle_f64_e32 vcc_lo, s[12:13], v[1:2]
	v_cmp_nge_f64_e64 s0, s[14:15], v[1:2]
	s_or_b32 s0, vcc_lo, s0
	s_and_b32 vcc_lo, exec_lo, s0
	s_cbranch_vccnz .LBB26_5
; %bb.7:                                ;   in Loop: Header=BB26_6 Depth=1
	s_ashr_i32 s29, s28, 31
	s_lshl_b64 s[52:53], s[28:29], 3
	s_add_i32 s28, s28, 1
	s_add_u32 s52, s40, s52
	s_addc_u32 s53, s41, s53
	global_store_dword v3, v4, s[24:25]
	global_store_dwordx2 v3, v[1:2], s[52:53]
	s_branch .LBB26_5
.LBB26_8:
	s_mov_b32 s47, -1
                                        ; implicit-def: $sgpr28
.LBB26_9:
	s_inst_prefetch 0x2
	s_andn2_b32 vcc_lo, exec_lo, s47
	s_cbranch_vccnz .LBB26_42
; %bb.10:
	s_lshl_b64 s[24:25], s[30:31], 3
	s_add_u32 s26, s22, s24
	s_addc_u32 s27, s23, s25
	s_add_u32 s47, s26, s24
	s_addc_u32 s48, s27, s25
	s_andn2_b32 vcc_lo, exec_lo, s50
	s_cbranch_vccnz .LBB26_15
; %bb.11:
	s_add_u32 s0, s36, s34
	s_addc_u32 s28, s37, s35
	s_add_u32 s0, s0, s38
	s_addc_u32 s28, s28, s39
	s_add_u32 s0, s16, s0
	v_mov_b32_e32 v3, 0
	v_mov_b32_e32 v4, 1
	s_addc_u32 s16, s17, s28
	s_add_u32 s28, s0, 8
	s_addc_u32 s29, s16, 0
	s_mov_b32 s31, 0
	s_mov_b64 s[34:35], s[6:7]
	s_mov_b32 s16, 0
	s_inst_prefetch 0x1
	s_branch .LBB26_13
	.p2align	6
.LBB26_12:                              ;   in Loop: Header=BB26_13 Depth=1
	s_add_i32 s31, s31, 1
	s_add_u32 s28, s28, 4
	s_addc_u32 s29, s29, 0
	s_add_u32 s34, s34, 8
	s_addc_u32 s35, s35, 0
	s_cmp_eq_u32 s1, s31
	s_cbranch_scc1 .LBB26_16
.LBB26_13:                              ; =>This Inner Loop Header: Depth=1
	global_load_dwordx2 v[1:2], v3, s[34:35]
	global_store_dword v3, v3, s[28:29]
	s_waitcnt vmcnt(0) lgkmcnt(0)
	v_cmp_nle_f64_e32 vcc_lo, s[12:13], v[1:2]
	v_cmp_nge_f64_e64 s0, s[14:15], v[1:2]
	s_or_b32 s0, vcc_lo, s0
	s_and_b32 vcc_lo, exec_lo, s0
	s_cbranch_vccnz .LBB26_12
; %bb.14:                               ;   in Loop: Header=BB26_13 Depth=1
	s_ashr_i32 s17, s16, 31
	s_add_i32 s0, s16, 1
	s_lshl_b64 s[36:37], s[16:17], 2
	v_mov_b32_e32 v5, s31
	s_add_u32 s36, s45, s36
	s_addc_u32 s37, s46, s37
	s_add_i32 s38, s16, s1
	global_store_dword v3, v4, s[28:29]
	s_ashr_i32 s39, s38, 31
	s_lshl_b64 s[38:39], s[38:39], 3
	s_add_u32 s38, s47, s38
	s_addc_u32 s39, s48, s39
	s_lshl_b64 s[50:51], s[16:17], 3
	s_mov_b32 s16, s0
	s_add_u32 s50, s47, s50
	s_addc_u32 s51, s48, s51
	global_store_dwordx2 v3, v[1:2], s[38:39] offset:16
	global_store_dwordx2 v3, v[1:2], s[50:51] offset:16
	global_store_dword v3, v5, s[36:37] offset:8
	s_branch .LBB26_12
.LBB26_15:
	s_mov_b32 s16, 0
.LBB26_16:
	s_inst_prefetch 0x2
	s_cmp_lt_i32 s16, 2
	s_mul_hi_i32 s0, s30, 24
	s_mul_i32 s39, s30, 24
	s_cbranch_scc1 .LBB26_23
; %bb.17:
	s_add_u32 s17, s47, s24
	s_addc_u32 s38, s48, s25
	s_waitcnt lgkmcnt(0)
	s_add_i32 s12, s49, 2
	v_mov_b32_e32 v5, 0
	s_mul_i32 s12, s20, s12
	s_mov_b32 s28, 1
	s_ashr_i32 s13, s12, 31
	s_lshl_b64 s[12:13], s[12:13], 3
	s_add_u32 s12, s39, s12
	s_addc_u32 s13, s0, s13
	s_add_u32 s12, s18, s12
	s_addc_u32 s13, s19, s13
	;; [unrolled: 2-line block ×3, first 2 shown]
	s_inst_prefetch 0x1
	s_branch .LBB26_19
	.p2align	6
.LBB26_18:                              ;   in Loop: Header=BB26_19 Depth=1
	s_add_i32 s28, s28, 1
	s_add_u32 s12, s12, 8
	s_addc_u32 s13, s13, 0
	s_cmp_lg_u32 s28, s16
	s_cbranch_scc0 .LBB26_23
.LBB26_19:                              ; =>This Loop Header: Depth=1
                                        ;     Child Loop BB26_20 Depth 2
	s_ashr_i32 s29, s28, 31
	s_mov_b64 s[36:37], s[12:13]
	s_lshl_b64 s[30:31], s[28:29], 3
	s_add_i32 s29, s28, -1
	s_add_u32 s30, s17, s30
	s_addc_u32 s31, s38, s31
	s_mov_b32 s35, s28
	global_load_dwordx2 v[1:2], v5, s[30:31] offset:8
	s_mov_b32 s34, s29
	s_waitcnt vmcnt(0)
	v_mov_b32_e32 v4, v2
	v_mov_b32_e32 v3, v1
.LBB26_20:                              ;   Parent Loop BB26_19 Depth=1
                                        ; =>  This Inner Loop Header: Depth=2
	global_load_dwordx2 v[6:7], v5, s[36:37]
	s_waitcnt vmcnt(0)
	v_cmp_lt_f64_e32 vcc_lo, v[6:7], v[3:4]
	s_and_b32 s50, vcc_lo, exec_lo
	v_cndmask_b32_e32 v4, v4, v7, vcc_lo
	v_cndmask_b32_e32 v3, v3, v6, vcc_lo
	s_cselect_b32 s34, s35, s34
	s_add_i32 s35, s35, 1
	s_add_u32 s36, s36, 8
	s_addc_u32 s37, s37, 0
	s_cmp_eq_u32 s16, s35
	s_cbranch_scc0 .LBB26_20
; %bb.21:                               ;   in Loop: Header=BB26_19 Depth=1
	s_cmp_lg_u32 s34, s29
	s_cbranch_scc0 .LBB26_18
; %bb.22:                               ;   in Loop: Header=BB26_19 Depth=1
	s_ashr_i32 s35, s34, 31
	s_lshl_b64 s[34:35], s[34:35], 3
	s_add_u32 s34, s17, s34
	s_addc_u32 s35, s38, s35
	global_store_dwordx2 v5, v[1:2], s[34:35] offset:16
	global_store_dwordx2 v5, v[3:4], s[30:31] offset:8
	s_branch .LBB26_18
.LBB26_23:
	s_inst_prefetch 0x2
	s_cmp_lt_i32 s16, 1
	s_cbranch_scc1 .LBB26_41
; %bb.24:
	s_add_i32 s17, s16, -1
	s_cmp_gt_i32 s1, 1
	v_mov_b32_e32 v9, 0
	s_cselect_b32 s38, -1, 0
	s_add_i32 s49, s49, 2
	s_waitcnt lgkmcnt(0)
	s_mov_b32 s13, 0
	s_mul_i32 s28, s20, s49
	s_ashr_i32 s29, s28, 31
	s_lshl_b64 s[28:29], s[28:29], 3
	s_add_u32 s12, s39, s28
	s_addc_u32 s0, s0, s29
	s_add_u32 s30, s18, s12
	s_addc_u32 s31, s19, s0
	s_add_i32 s39, s1, -1
	s_add_u32 s0, s18, s28
	s_addc_u32 s12, s19, s29
	s_add_u32 s18, s0, 24
	s_addc_u32 s19, s12, 0
	s_mov_b32 s12, s13
	s_mov_b32 s28, s13
	s_branch .LBB26_27
.LBB26_25:                              ;   in Loop: Header=BB26_27 Depth=1
	s_mov_b32 s28, s0
.LBB26_26:                              ;   in Loop: Header=BB26_27 Depth=1
	s_add_i32 s12, s12, 1
	s_cmp_eq_u32 s12, s16
	s_cbranch_scc1 .LBB26_42
.LBB26_27:                              ; =>This Loop Header: Depth=1
                                        ;     Child Loop BB26_29 Depth 2
                                        ;     Child Loop BB26_36 Depth 2
	s_lshl_b64 s[34:35], s[12:13], 3
	s_mov_b64 s[36:37], s[30:31]
	s_add_u32 s34, s47, s34
	s_addc_u32 s35, s48, s35
	s_mov_b32 s29, s13
	global_load_dwordx2 v[1:2], v9, s[34:35] offset:16
	s_branch .LBB26_29
	.p2align	6
.LBB26_28:                              ;   in Loop: Header=BB26_29 Depth=2
	s_add_i32 s29, s0, 1
	s_add_u32 s36, s34, 8
	s_addc_u32 s37, s35, 0
	s_cmp_eq_u32 s16, s29
	s_mov_b32 s49, 0
	s_cselect_b32 s50, -1, 0
	s_andn2_b32 vcc_lo, exec_lo, s50
	s_cbranch_vccz .LBB26_31
.LBB26_29:                              ;   Parent Loop BB26_27 Depth=1
                                        ; =>  This Inner Loop Header: Depth=2
	global_load_dwordx2 v[5:6], v9, s[36:37] offset:16
	s_mov_b64 s[34:35], s[36:37]
	s_mov_b32 s0, s29
	s_waitcnt vmcnt(0)
	v_cmp_neq_f64_e32 vcc_lo, v[1:2], v[5:6]
	s_cbranch_vccnz .LBB26_28
; %bb.30:                               ;   in Loop: Header=BB26_27 Depth=1
	s_mov_b32 s49, -1
                                        ; implicit-def: $sgpr29
                                        ; implicit-def: $sgpr36_sgpr37
.LBB26_31:                              ;   in Loop: Header=BB26_27 Depth=1
	s_and_b32 vcc_lo, exec_lo, s49
	s_cbranch_vccz .LBB26_26
; %bb.32:                               ;   in Loop: Header=BB26_27 Depth=1
	v_mov_b32_e32 v7, s14
	v_mov_b32_e32 v8, s15
	s_cmp_eq_u32 s0, s17
	s_cbranch_scc1 .LBB26_34
; %bb.33:                               ;   in Loop: Header=BB26_27 Depth=1
	global_load_dwordx2 v[7:8], v9, s[34:35] offset:24
.LBB26_34:                              ;   in Loop: Header=BB26_27 Depth=1
	s_clause 0x1
	global_load_dwordx2 v[10:11], v9, s[26:27] offset:16
	global_load_dwordx2 v[3:4], v9, s[22:23] offset:16
	s_waitcnt vmcnt(2)
	v_add_f64 v[5:6], v[7:8], -v[5:6]
	s_andn2_b32 vcc_lo, exec_lo, s38
	v_fma_f64 v[5:6], v[5:6], 0.5, v[1:2]
	s_waitcnt vmcnt(1)
	v_add_f64 v[7:8], v[10:11], -v[5:6]
	s_waitcnt vmcnt(0)
	v_cmp_le_f64_e64 s0, v[7:8], v[3:4]
	v_cndmask_b32_e64 v10, 0, 1, s0
	v_readfirstlane_b32 s29, v10
	s_cbranch_vccnz .LBB26_37
; %bb.35:                               ;   in Loop: Header=BB26_27 Depth=1
	v_cmp_gt_f64_e64 s34, v[7:8], -v[3:4]
	v_xor_b32_e32 v10, 0x80000000, v4
	s_mov_b32 s36, s39
	s_and_b32 vcc_lo, s0, s34
	s_mov_b64 s[34:35], s[18:19]
	v_cndmask_b32_e32 v8, v8, v10, vcc_lo
	v_cndmask_b32_e32 v7, v7, v3, vcc_lo
	s_inst_prefetch 0x1
	.p2align	6
.LBB26_36:                              ;   Parent Loop BB26_27 Depth=1
                                        ; =>  This Inner Loop Header: Depth=2
	s_add_u32 s50, s34, s24
	s_addc_u32 s51, s35, s25
	s_clause 0x1
	global_load_dwordx2 v[11:12], v9, s[34:35]
	global_load_dwordx2 v[13:14], v9, s[50:51]
	s_waitcnt vmcnt(1)
	v_div_scale_f64 v[15:16], null, v[7:8], v[7:8], v[11:12]
	v_div_scale_f64 v[21:22], vcc_lo, v[11:12], v[7:8], v[11:12]
	s_waitcnt vmcnt(0)
	v_add_f64 v[13:14], v[13:14], -v[5:6]
	v_rcp_f64_e32 v[17:18], v[15:16]
	v_fma_f64 v[19:20], -v[15:16], v[17:18], 1.0
	v_fma_f64 v[17:18], v[17:18], v[19:20], v[17:18]
	v_fma_f64 v[19:20], -v[15:16], v[17:18], 1.0
	v_fma_f64 v[17:18], v[17:18], v[19:20], v[17:18]
	v_mul_f64 v[19:20], v[21:22], v[17:18]
	v_fma_f64 v[15:16], -v[15:16], v[19:20], v[21:22]
	v_div_fmas_f64 v[15:16], v[15:16], v[17:18], v[19:20]
	v_div_fixup_f64 v[7:8], v[15:16], v[7:8], v[11:12]
	v_add_f64 v[7:8], v[13:14], -v[7:8]
	v_cmp_le_f64_e32 vcc_lo, v[7:8], v[3:4]
	v_cmp_gt_f64_e64 s0, v[7:8], -v[3:4]
	s_and_b32 s0, vcc_lo, s0
	s_cmp_lg_u32 vcc_lo, 0
	v_cndmask_b32_e64 v8, v8, v10, s0
	v_cndmask_b32_e64 v7, v7, v3, s0
	s_addc_u32 s29, s29, 0
	s_add_i32 s36, s36, -1
	s_add_u32 s34, s34, 8
	s_addc_u32 s35, s35, 0
	s_cmp_lg_u32 s36, 0
	s_cbranch_scc1 .LBB26_36
.LBB26_37:                              ;   in Loop: Header=BB26_27 Depth=1
	s_inst_prefetch 0x2
	s_cmp_lt_i32 s29, s2
	s_cselect_b32 s0, -1, 0
	s_cmp_gt_i32 s29, s3
	s_cselect_b32 s29, -1, 0
	s_or_b32 s0, s0, s29
	s_mov_b32 s29, -1
	s_and_b32 vcc_lo, exec_lo, s0
                                        ; implicit-def: $sgpr0
	s_cbranch_vccnz .LBB26_39
; %bb.38:                               ;   in Loop: Header=BB26_27 Depth=1
	s_ashr_i32 s29, s28, 31
	s_lshl_b64 s[34:35], s[28:29], 3
	s_mov_b32 s29, 0
	s_add_u32 s34, s40, s34
	s_addc_u32 s35, s41, s35
	s_add_i32 s0, s28, 1
	global_store_dwordx2 v9, v[1:2], s[34:35]
.LBB26_39:                              ;   in Loop: Header=BB26_27 Depth=1
	s_andn2_b32 vcc_lo, exec_lo, s29
	s_cbranch_vccnz .LBB26_25
; %bb.40:                               ;   in Loop: Header=BB26_27 Depth=1
	s_lshl_b64 s[34:35], s[12:13], 2
	s_mov_b32 s0, s28
	s_add_u32 s34, s45, s34
	s_addc_u32 s35, s46, s35
	global_load_dword v1, v9, s[34:35] offset:8
	s_waitcnt vmcnt(0)
	v_ashrrev_i32_e32 v2, 31, v1
	v_lshlrev_b64 v[1:2], 2, v[1:2]
	v_add_co_u32 v1, vcc_lo, s42, v1
	v_add_co_ci_u32_e64 v2, null, s43, v2, vcc_lo
	global_store_dword v[1:2], v9, off offset:8
	s_branch .LBB26_25
.LBB26_41:
	s_mov_b32 s28, 0
.LBB26_42:
	v_mov_b32_e32 v1, 0
	v_mov_b32_e32 v2, s28
	global_store_dword v1, v2, s[8:9]
.LBB26_43:
	s_or_b32 exec_lo, exec_lo, s44
	s_cmp_lt_i32 s1, 1
	s_waitcnt lgkmcnt(0)
	s_waitcnt_vscnt null, 0x0
	s_barrier
	buffer_gl0_inv
	s_cbranch_scc1 .LBB26_51
; %bb.44:
	s_clause 0x1
	s_load_dwordx2 s[14:15], s[4:5], 0x48
	s_load_dword s12, s[4:5], 0x40
	v_cmp_le_i32_e32 vcc_lo, s1, v0
	v_mov_b32_e32 v6, 0
	v_mov_b32_e32 v1, v0
	s_mov_b32 s3, 0
	s_waitcnt lgkmcnt(0)
	s_mul_i32 s0, s14, s21
	s_mul_hi_u32 s2, s14, s20
	s_mul_i32 s5, s15, s20
	s_add_i32 s0, s2, s0
	s_mul_i32 s4, s14, s20
	s_add_i32 s5, s0, s5
	s_mov_b32 s2, s3
	s_lshl_b64 s[4:5], s[4:5], 3
	s_mov_b32 s15, s3
	s_add_u32 s4, s10, s4
	s_addc_u32 s5, s11, s5
	s_lshl_b32 s13, s33, 3
	s_xor_b32 s14, vcc_lo, -1
	s_branch .LBB26_47
.LBB26_45:                              ;   in Loop: Header=BB26_47 Depth=1
	s_or_b32 exec_lo, exec_lo, s16
	s_add_i32 s15, s15, 1
.LBB26_46:                              ;   in Loop: Header=BB26_47 Depth=1
	v_add_nc_u32_e32 v1, s12, v1
	s_add_i32 s2, s2, 1
	s_waitcnt_vscnt null, 0x0
	s_cmp_lg_u32 s2, s1
	s_barrier
	buffer_gl0_inv
	s_cbranch_scc0 .LBB26_51
.LBB26_47:                              ; =>This Loop Header: Depth=1
                                        ;     Child Loop BB26_50 Depth 2
	s_lshl_b64 s[10:11], s[2:3], 2
	s_add_u32 s10, s42, s10
	s_addc_u32 s11, s43, s11
	global_load_dword v2, v6, s[10:11] offset:8
	s_waitcnt vmcnt(0)
	v_cmp_ne_u32_e32 vcc_lo, 1, v2
	s_cbranch_vccnz .LBB26_46
; %bb.48:                               ;   in Loop: Header=BB26_47 Depth=1
	s_cmp_lg_u32 s2, s15
	s_cselect_b32 s0, -1, 0
	s_and_b32 s0, s0, s14
	s_and_saveexec_b32 s16, s0
	s_cbranch_execz .LBB26_45
; %bb.49:                               ;   in Loop: Header=BB26_47 Depth=1
	v_mad_u64_u32 v[4:5], null, s15, s12, v[0:1]
	v_ashrrev_i32_e32 v2, 31, v1
	v_mov_b32_e32 v7, v0
	s_mov_b32 s17, 0
	s_mov_b64 s[10:11], s[4:5]
	v_lshlrev_b64 v[2:3], 3, v[1:2]
	v_ashrrev_i32_e32 v5, 31, v4
	v_lshlrev_b64 v[4:5], 3, v[4:5]
	.p2align	6
.LBB26_50:                              ;   Parent Loop BB26_47 Depth=1
                                        ; =>  This Inner Loop Header: Depth=2
	v_add_co_u32 v8, vcc_lo, s10, v2
	v_add_co_ci_u32_e64 v9, null, s11, v3, vcc_lo
	v_add_nc_u32_e32 v7, s33, v7
	v_add_co_u32 v10, vcc_lo, s10, v4
	global_load_dwordx2 v[8:9], v[8:9], off
	v_add_co_ci_u32_e64 v11, null, s11, v5, vcc_lo
	v_cmp_le_i32_e64 s0, s1, v7
	s_add_u32 s10, s10, s13
	s_addc_u32 s11, s11, 0
	s_or_b32 s17, s0, s17
	s_waitcnt vmcnt(0)
	global_store_dwordx2 v[10:11], v[8:9], off
	s_andn2_b32 exec_lo, exec_lo, s17
	s_cbranch_execnz .LBB26_50
	s_branch .LBB26_45
.LBB26_51:
	s_mov_b32 s12, 0
.LBB26_52:
	s_and_b32 vcc_lo, exec_lo, s12
	s_cbranch_vccz .LBB26_56
; %bb.53:
	v_mov_b32_e32 v1, 0
	v_mov_b32_e32 v2, s1
	s_mov_b32 s0, exec_lo
	global_store_dword v1, v2, s[8:9]
	v_cmpx_gt_i32_e64 s1, v0
	s_cbranch_execz .LBB26_56
; %bb.54:
	v_lshlrev_b32_e32 v2, 3, v0
	s_mov_b32 s2, 0
	s_lshl_b32 s3, s33, 3
	.p2align	6
.LBB26_55:                              ; =>This Inner Loop Header: Depth=1
	v_add_co_u32 v3, vcc_lo, s6, v2
	v_add_co_ci_u32_e64 v4, null, s7, v1, vcc_lo
	v_add_nc_u32_e32 v0, s33, v0
	v_add_co_u32 v5, vcc_lo, s40, v2
	global_load_dwordx2 v[3:4], v[3:4], off
	v_add_co_ci_u32_e64 v6, null, s41, v1, vcc_lo
	v_cmp_le_i32_e32 vcc_lo, s1, v0
	v_add_co_u32 v2, s0, v2, s3
	v_add_co_ci_u32_e64 v1, null, 0, v1, s0
	s_or_b32 s2, vcc_lo, s2
	s_waitcnt vmcnt(0)
	global_store_dwordx2 v[5:6], v[3:4], off
	s_andn2_b32 exec_lo, exec_lo, s2
	s_cbranch_execnz .LBB26_55
.LBB26_56:
	s_endpgm
	.section	.rodata,"a",@progbits
	.p2align	6, 0x0
	.amdhsa_kernel _ZN9rocsolver6v33100L23stedcx_synthesis_kernelIdEEv15rocblas_erange_iiiPT_lPiS4_lS4_iliS5_S4_S3_
		.amdhsa_group_segment_fixed_size 0
		.amdhsa_private_segment_fixed_size 0
		.amdhsa_kernarg_size 368
		.amdhsa_user_sgpr_count 6
		.amdhsa_user_sgpr_private_segment_buffer 1
		.amdhsa_user_sgpr_dispatch_ptr 0
		.amdhsa_user_sgpr_queue_ptr 0
		.amdhsa_user_sgpr_kernarg_segment_ptr 1
		.amdhsa_user_sgpr_dispatch_id 0
		.amdhsa_user_sgpr_flat_scratch_init 0
		.amdhsa_user_sgpr_private_segment_size 0
		.amdhsa_wavefront_size32 1
		.amdhsa_uses_dynamic_stack 0
		.amdhsa_system_sgpr_private_segment_wavefront_offset 0
		.amdhsa_system_sgpr_workgroup_id_x 1
		.amdhsa_system_sgpr_workgroup_id_y 1
		.amdhsa_system_sgpr_workgroup_id_z 0
		.amdhsa_system_sgpr_workgroup_info 0
		.amdhsa_system_vgpr_workitem_id 0
		.amdhsa_next_free_vgpr 23
		.amdhsa_next_free_sgpr 54
		.amdhsa_reserve_vcc 1
		.amdhsa_reserve_flat_scratch 0
		.amdhsa_float_round_mode_32 0
		.amdhsa_float_round_mode_16_64 0
		.amdhsa_float_denorm_mode_32 3
		.amdhsa_float_denorm_mode_16_64 3
		.amdhsa_dx10_clamp 1
		.amdhsa_ieee_mode 1
		.amdhsa_fp16_overflow 0
		.amdhsa_workgroup_processor_mode 1
		.amdhsa_memory_ordered 1
		.amdhsa_forward_progress 1
		.amdhsa_shared_vgpr_count 0
		.amdhsa_exception_fp_ieee_invalid_op 0
		.amdhsa_exception_fp_denorm_src 0
		.amdhsa_exception_fp_ieee_div_zero 0
		.amdhsa_exception_fp_ieee_overflow 0
		.amdhsa_exception_fp_ieee_underflow 0
		.amdhsa_exception_fp_ieee_inexact 0
		.amdhsa_exception_int_div_zero 0
	.end_amdhsa_kernel
	.section	.text._ZN9rocsolver6v33100L23stedcx_synthesis_kernelIdEEv15rocblas_erange_iiiPT_lPiS4_lS4_iliS5_S4_S3_,"axG",@progbits,_ZN9rocsolver6v33100L23stedcx_synthesis_kernelIdEEv15rocblas_erange_iiiPT_lPiS4_lS4_iliS5_S4_S3_,comdat
.Lfunc_end26:
	.size	_ZN9rocsolver6v33100L23stedcx_synthesis_kernelIdEEv15rocblas_erange_iiiPT_lPiS4_lS4_iliS5_S4_S3_, .Lfunc_end26-_ZN9rocsolver6v33100L23stedcx_synthesis_kernelIdEEv15rocblas_erange_iiiPT_lPiS4_lS4_iliS5_S4_S3_
                                        ; -- End function
	.set _ZN9rocsolver6v33100L23stedcx_synthesis_kernelIdEEv15rocblas_erange_iiiPT_lPiS4_lS4_iliS5_S4_S3_.num_vgpr, 23
	.set _ZN9rocsolver6v33100L23stedcx_synthesis_kernelIdEEv15rocblas_erange_iiiPT_lPiS4_lS4_iliS5_S4_S3_.num_agpr, 0
	.set _ZN9rocsolver6v33100L23stedcx_synthesis_kernelIdEEv15rocblas_erange_iiiPT_lPiS4_lS4_iliS5_S4_S3_.numbered_sgpr, 54
	.set _ZN9rocsolver6v33100L23stedcx_synthesis_kernelIdEEv15rocblas_erange_iiiPT_lPiS4_lS4_iliS5_S4_S3_.num_named_barrier, 0
	.set _ZN9rocsolver6v33100L23stedcx_synthesis_kernelIdEEv15rocblas_erange_iiiPT_lPiS4_lS4_iliS5_S4_S3_.private_seg_size, 0
	.set _ZN9rocsolver6v33100L23stedcx_synthesis_kernelIdEEv15rocblas_erange_iiiPT_lPiS4_lS4_iliS5_S4_S3_.uses_vcc, 1
	.set _ZN9rocsolver6v33100L23stedcx_synthesis_kernelIdEEv15rocblas_erange_iiiPT_lPiS4_lS4_iliS5_S4_S3_.uses_flat_scratch, 0
	.set _ZN9rocsolver6v33100L23stedcx_synthesis_kernelIdEEv15rocblas_erange_iiiPT_lPiS4_lS4_iliS5_S4_S3_.has_dyn_sized_stack, 0
	.set _ZN9rocsolver6v33100L23stedcx_synthesis_kernelIdEEv15rocblas_erange_iiiPT_lPiS4_lS4_iliS5_S4_S3_.has_recursion, 0
	.set _ZN9rocsolver6v33100L23stedcx_synthesis_kernelIdEEv15rocblas_erange_iiiPT_lPiS4_lS4_iliS5_S4_S3_.has_indirect_call, 0
	.section	.AMDGPU.csdata,"",@progbits
; Kernel info:
; codeLenInByte = 2460
; TotalNumSgprs: 56
; NumVgprs: 23
; ScratchSize: 0
; MemoryBound: 0
; FloatMode: 240
; IeeeMode: 1
; LDSByteSize: 0 bytes/workgroup (compile time only)
; SGPRBlocks: 0
; VGPRBlocks: 2
; NumSGPRsForWavesPerEU: 56
; NumVGPRsForWavesPerEU: 23
; Occupancy: 16
; WaveLimiterHint : 1
; COMPUTE_PGM_RSRC2:SCRATCH_EN: 0
; COMPUTE_PGM_RSRC2:USER_SGPR: 6
; COMPUTE_PGM_RSRC2:TRAP_HANDLER: 0
; COMPUTE_PGM_RSRC2:TGID_X_EN: 1
; COMPUTE_PGM_RSRC2:TGID_Y_EN: 1
; COMPUTE_PGM_RSRC2:TGID_Z_EN: 0
; COMPUTE_PGM_RSRC2:TIDIG_COMP_CNT: 0
	.section	.text._ZN9rocsolver6v33100L8copy_matIdPdNS0_7no_maskEEEvNS0_17copymat_directionEiiT0_iilPT_T1_13rocblas_fill_17rocblas_diagonal_,"axG",@progbits,_ZN9rocsolver6v33100L8copy_matIdPdNS0_7no_maskEEEvNS0_17copymat_directionEiiT0_iilPT_T1_13rocblas_fill_17rocblas_diagonal_,comdat
	.globl	_ZN9rocsolver6v33100L8copy_matIdPdNS0_7no_maskEEEvNS0_17copymat_directionEiiT0_iilPT_T1_13rocblas_fill_17rocblas_diagonal_ ; -- Begin function _ZN9rocsolver6v33100L8copy_matIdPdNS0_7no_maskEEEvNS0_17copymat_directionEiiT0_iilPT_T1_13rocblas_fill_17rocblas_diagonal_
	.p2align	8
	.type	_ZN9rocsolver6v33100L8copy_matIdPdNS0_7no_maskEEEvNS0_17copymat_directionEiiT0_iilPT_T1_13rocblas_fill_17rocblas_diagonal_,@function
_ZN9rocsolver6v33100L8copy_matIdPdNS0_7no_maskEEEvNS0_17copymat_directionEiiT0_iilPT_T1_13rocblas_fill_17rocblas_diagonal_: ; @_ZN9rocsolver6v33100L8copy_matIdPdNS0_7no_maskEEEvNS0_17copymat_directionEiiT0_iilPT_T1_13rocblas_fill_17rocblas_diagonal_
; %bb.0:
	s_clause 0x1
	s_load_dword s0, s[4:5], 0x4c
	s_load_dwordx4 s[12:15], s[4:5], 0x0
	s_waitcnt lgkmcnt(0)
	s_lshr_b32 s1, s0, 16
	s_and_b32 s0, s0, 0xffff
	v_mad_u64_u32 v[2:3], null, s6, s0, v[0:1]
	v_mad_u64_u32 v[0:1], null, s7, s1, v[1:2]
	v_cmp_gt_u32_e32 vcc_lo, s13, v2
	v_cmp_gt_u32_e64 s0, s14, v0
	s_and_b32 s0, s0, vcc_lo
	s_and_saveexec_b32 s1, s0
	s_cbranch_execz .LBB27_14
; %bb.1:
	s_load_dwordx2 s[2:3], s[4:5], 0x34
	s_waitcnt lgkmcnt(0)
	s_cmpk_lt_i32 s2, 0x7a
	s_cbranch_scc1 .LBB27_4
; %bb.2:
	s_cmpk_gt_i32 s2, 0x7a
	s_cbranch_scc0 .LBB27_5
; %bb.3:
	s_cmpk_lg_i32 s2, 0x7b
	s_mov_b32 s1, -1
	s_cselect_b32 s6, -1, 0
	s_cbranch_execz .LBB27_6
	s_branch .LBB27_7
.LBB27_4:
	s_mov_b32 s6, 0
	s_mov_b32 s1, 0
	s_cbranch_execnz .LBB27_8
	s_branch .LBB27_10
.LBB27_5:
	s_mov_b32 s1, 0
	s_mov_b32 s6, 0
.LBB27_6:
	v_cmp_gt_u32_e32 vcc_lo, v2, v0
	v_cmp_le_u32_e64 s0, v2, v0
	s_andn2_b32 s1, s1, exec_lo
	s_andn2_b32 s6, s6, exec_lo
	s_and_b32 s7, vcc_lo, exec_lo
	s_and_b32 s0, s0, exec_lo
	s_or_b32 s1, s1, s7
	s_or_b32 s6, s6, s0
.LBB27_7:
	s_branch .LBB27_10
.LBB27_8:
	s_cmpk_eq_i32 s2, 0x79
	s_mov_b32 s6, -1
	s_cbranch_scc0 .LBB27_10
; %bb.9:
	v_cmp_gt_u32_e32 vcc_lo, v0, v2
	v_cmp_le_u32_e64 s0, v0, v2
	s_andn2_b32 s1, s1, exec_lo
	s_and_b32 s2, vcc_lo, exec_lo
	s_orn2_b32 s6, s0, exec_lo
	s_or_b32 s1, s1, s2
.LBB27_10:
	s_and_saveexec_b32 s0, s6
; %bb.11:
	v_cmp_eq_u32_e32 vcc_lo, v2, v0
	s_cmpk_eq_i32 s3, 0x83
	s_cselect_b32 s2, -1, 0
	s_andn2_b32 s1, s1, exec_lo
	s_and_b32 s2, s2, vcc_lo
	s_and_b32 s2, s2, exec_lo
	s_or_b32 s1, s1, s2
; %bb.12:
	s_or_b32 exec_lo, exec_lo, s0
	s_and_b32 exec_lo, exec_lo, s1
	s_cbranch_execz .LBB27_14
; %bb.13:
	s_load_dwordx8 s[0:7], s[4:5], 0x10
	s_ashr_i32 s9, s13, 31
	s_ashr_i32 s10, s14, 31
	s_mul_i32 s16, s9, s8
	s_mul_hi_u32 s11, s13, s8
	s_mul_i32 s15, s13, s8
	s_mul_i32 s10, s15, s10
	s_waitcnt lgkmcnt(0)
	s_mul_i32 s5, s5, s8
	s_mul_hi_u32 s9, s4, s8
	s_mul_i32 s4, s4, s8
	s_add_i32 s5, s9, s5
	s_ashr_i32 s9, s2, 31
	s_lshl_b64 s[4:5], s[4:5], 3
	s_mov_b32 s8, s2
	s_add_u32 s2, s0, s4
	s_addc_u32 s4, s1, s5
	s_lshl_b64 s[0:1], s[8:9], 3
	s_mul_hi_u32 s5, s15, s14
	s_add_u32 s2, s2, s0
	s_addc_u32 s4, s4, s1
	s_add_i32 s0, s11, s16
	s_add_i32 s1, s5, s10
	s_mul_i32 s5, s0, s14
	s_mul_i32 s0, s15, s14
	s_add_i32 s1, s1, s5
	s_lshl_b64 s[0:1], s[0:1], 3
	s_add_u32 s0, s6, s0
	s_addc_u32 s1, s7, s1
	s_cmp_eq_u32 s12, 0
	s_cselect_b32 s5, s3, s13
	s_cselect_b32 s6, s2, s0
	v_mad_u64_u32 v[3:4], null, v0, s5, v[2:3]
	v_mov_b32_e32 v4, 0
	s_cselect_b32 s5, s4, s1
	s_cselect_b32 s3, s13, s3
	;; [unrolled: 1-line block ×4, first 2 shown]
	v_lshlrev_b64 v[5:6], 3, v[3:4]
	v_mad_u64_u32 v[0:1], null, v0, s3, v[2:3]
	v_mov_b32_e32 v1, v4
	v_add_co_u32 v5, vcc_lo, s6, v5
	v_add_co_ci_u32_e64 v6, null, s5, v6, vcc_lo
	v_lshlrev_b64 v[0:1], 3, v[0:1]
	global_load_dwordx2 v[5:6], v[5:6], off
	v_add_co_u32 v0, vcc_lo, s0, v0
	v_add_co_ci_u32_e64 v1, null, s1, v1, vcc_lo
	s_waitcnt vmcnt(0)
	global_store_dwordx2 v[0:1], v[5:6], off
.LBB27_14:
	s_endpgm
	.section	.rodata,"a",@progbits
	.p2align	6, 0x0
	.amdhsa_kernel _ZN9rocsolver6v33100L8copy_matIdPdNS0_7no_maskEEEvNS0_17copymat_directionEiiT0_iilPT_T1_13rocblas_fill_17rocblas_diagonal_
		.amdhsa_group_segment_fixed_size 0
		.amdhsa_private_segment_fixed_size 0
		.amdhsa_kernarg_size 320
		.amdhsa_user_sgpr_count 6
		.amdhsa_user_sgpr_private_segment_buffer 1
		.amdhsa_user_sgpr_dispatch_ptr 0
		.amdhsa_user_sgpr_queue_ptr 0
		.amdhsa_user_sgpr_kernarg_segment_ptr 1
		.amdhsa_user_sgpr_dispatch_id 0
		.amdhsa_user_sgpr_flat_scratch_init 0
		.amdhsa_user_sgpr_private_segment_size 0
		.amdhsa_wavefront_size32 1
		.amdhsa_uses_dynamic_stack 0
		.amdhsa_system_sgpr_private_segment_wavefront_offset 0
		.amdhsa_system_sgpr_workgroup_id_x 1
		.amdhsa_system_sgpr_workgroup_id_y 1
		.amdhsa_system_sgpr_workgroup_id_z 1
		.amdhsa_system_sgpr_workgroup_info 0
		.amdhsa_system_vgpr_workitem_id 1
		.amdhsa_next_free_vgpr 7
		.amdhsa_next_free_sgpr 17
		.amdhsa_reserve_vcc 1
		.amdhsa_reserve_flat_scratch 0
		.amdhsa_float_round_mode_32 0
		.amdhsa_float_round_mode_16_64 0
		.amdhsa_float_denorm_mode_32 3
		.amdhsa_float_denorm_mode_16_64 3
		.amdhsa_dx10_clamp 1
		.amdhsa_ieee_mode 1
		.amdhsa_fp16_overflow 0
		.amdhsa_workgroup_processor_mode 1
		.amdhsa_memory_ordered 1
		.amdhsa_forward_progress 1
		.amdhsa_shared_vgpr_count 0
		.amdhsa_exception_fp_ieee_invalid_op 0
		.amdhsa_exception_fp_denorm_src 0
		.amdhsa_exception_fp_ieee_div_zero 0
		.amdhsa_exception_fp_ieee_overflow 0
		.amdhsa_exception_fp_ieee_underflow 0
		.amdhsa_exception_fp_ieee_inexact 0
		.amdhsa_exception_int_div_zero 0
	.end_amdhsa_kernel
	.section	.text._ZN9rocsolver6v33100L8copy_matIdPdNS0_7no_maskEEEvNS0_17copymat_directionEiiT0_iilPT_T1_13rocblas_fill_17rocblas_diagonal_,"axG",@progbits,_ZN9rocsolver6v33100L8copy_matIdPdNS0_7no_maskEEEvNS0_17copymat_directionEiiT0_iilPT_T1_13rocblas_fill_17rocblas_diagonal_,comdat
.Lfunc_end27:
	.size	_ZN9rocsolver6v33100L8copy_matIdPdNS0_7no_maskEEEvNS0_17copymat_directionEiiT0_iilPT_T1_13rocblas_fill_17rocblas_diagonal_, .Lfunc_end27-_ZN9rocsolver6v33100L8copy_matIdPdNS0_7no_maskEEEvNS0_17copymat_directionEiiT0_iilPT_T1_13rocblas_fill_17rocblas_diagonal_
                                        ; -- End function
	.set _ZN9rocsolver6v33100L8copy_matIdPdNS0_7no_maskEEEvNS0_17copymat_directionEiiT0_iilPT_T1_13rocblas_fill_17rocblas_diagonal_.num_vgpr, 7
	.set _ZN9rocsolver6v33100L8copy_matIdPdNS0_7no_maskEEEvNS0_17copymat_directionEiiT0_iilPT_T1_13rocblas_fill_17rocblas_diagonal_.num_agpr, 0
	.set _ZN9rocsolver6v33100L8copy_matIdPdNS0_7no_maskEEEvNS0_17copymat_directionEiiT0_iilPT_T1_13rocblas_fill_17rocblas_diagonal_.numbered_sgpr, 17
	.set _ZN9rocsolver6v33100L8copy_matIdPdNS0_7no_maskEEEvNS0_17copymat_directionEiiT0_iilPT_T1_13rocblas_fill_17rocblas_diagonal_.num_named_barrier, 0
	.set _ZN9rocsolver6v33100L8copy_matIdPdNS0_7no_maskEEEvNS0_17copymat_directionEiiT0_iilPT_T1_13rocblas_fill_17rocblas_diagonal_.private_seg_size, 0
	.set _ZN9rocsolver6v33100L8copy_matIdPdNS0_7no_maskEEEvNS0_17copymat_directionEiiT0_iilPT_T1_13rocblas_fill_17rocblas_diagonal_.uses_vcc, 1
	.set _ZN9rocsolver6v33100L8copy_matIdPdNS0_7no_maskEEEvNS0_17copymat_directionEiiT0_iilPT_T1_13rocblas_fill_17rocblas_diagonal_.uses_flat_scratch, 0
	.set _ZN9rocsolver6v33100L8copy_matIdPdNS0_7no_maskEEEvNS0_17copymat_directionEiiT0_iilPT_T1_13rocblas_fill_17rocblas_diagonal_.has_dyn_sized_stack, 0
	.set _ZN9rocsolver6v33100L8copy_matIdPdNS0_7no_maskEEEvNS0_17copymat_directionEiiT0_iilPT_T1_13rocblas_fill_17rocblas_diagonal_.has_recursion, 0
	.set _ZN9rocsolver6v33100L8copy_matIdPdNS0_7no_maskEEEvNS0_17copymat_directionEiiT0_iilPT_T1_13rocblas_fill_17rocblas_diagonal_.has_indirect_call, 0
	.section	.AMDGPU.csdata,"",@progbits
; Kernel info:
; codeLenInByte = 516
; TotalNumSgprs: 19
; NumVgprs: 7
; ScratchSize: 0
; MemoryBound: 0
; FloatMode: 240
; IeeeMode: 1
; LDSByteSize: 0 bytes/workgroup (compile time only)
; SGPRBlocks: 0
; VGPRBlocks: 0
; NumSGPRsForWavesPerEU: 19
; NumVGPRsForWavesPerEU: 7
; Occupancy: 16
; WaveLimiterHint : 0
; COMPUTE_PGM_RSRC2:SCRATCH_EN: 0
; COMPUTE_PGM_RSRC2:USER_SGPR: 6
; COMPUTE_PGM_RSRC2:TRAP_HANDLER: 0
; COMPUTE_PGM_RSRC2:TGID_X_EN: 1
; COMPUTE_PGM_RSRC2:TGID_Y_EN: 1
; COMPUTE_PGM_RSRC2:TGID_Z_EN: 1
; COMPUTE_PGM_RSRC2:TIDIG_COMP_CNT: 1
	.section	.text._ZN9rocsolver6v33100L11stedcx_sortIddPdEEviPT0_lT1_iiliPiS6_,"axG",@progbits,_ZN9rocsolver6v33100L11stedcx_sortIddPdEEviPT0_lT1_iiliPiS6_,comdat
	.globl	_ZN9rocsolver6v33100L11stedcx_sortIddPdEEviPT0_lT1_iiliPiS6_ ; -- Begin function _ZN9rocsolver6v33100L11stedcx_sortIddPdEEviPT0_lT1_iiliPiS6_
	.p2align	8
	.type	_ZN9rocsolver6v33100L11stedcx_sortIddPdEEviPT0_lT1_iiliPiS6_,@function
_ZN9rocsolver6v33100L11stedcx_sortIddPdEEviPT0_lT1_iiliPiS6_: ; @_ZN9rocsolver6v33100L11stedcx_sortIddPdEEviPT0_lT1_iiliPiS6_
; %bb.0:
	s_add_u32 s6, s6, s10
	s_mov_b32 s32, 0
	s_addc_u32 s7, s7, 0
	s_setreg_b32 hwreg(HW_REG_FLAT_SCR_LO), s6
	s_setreg_b32 hwreg(HW_REG_FLAT_SCR_HI), s7
	s_load_dword s33, s[4:5], 0x30
	s_add_u32 s0, s0, s10
	s_addc_u32 s1, s1, 0
	s_waitcnt lgkmcnt(0)
	s_cmp_ge_i32 s9, s33
	s_cbranch_scc1 .LBB28_70
; %bb.1:
	s_mov_b32 s20, s9
	s_clause 0x3
	s_load_dword s34, s[4:5], 0x0
	s_load_dwordx4 s[8:11], s[4:5], 0x38
	s_load_dwordx8 s[12:19], s[4:5], 0x8
	s_load_dwordx2 s[22:23], s[4:5], 0x28
	s_add_u32 s24, s4, 0x48
	s_addc_u32 s25, s5, 0
	s_load_dword s35, s[4:5], 0x50
	v_or3_b32 v3, v1, v2, v0
	v_mov_b32_e32 v4, 0
	s_mov_b32 s27, 0
	s_mov_b32 s47, 0
                                        ; implicit-def: $sgpr48
                                        ; implicit-def: $sgpr44
                                        ; implicit-def: $sgpr49
                                        ; implicit-def: $sgpr50
	s_waitcnt lgkmcnt(0)
	s_mul_hi_i32 s7, s34, s20
	s_mul_i32 s6, s34, s20
	s_mov_b32 s45, s19
	s_lshl_b64 s[6:7], s[6:7], 2
	s_add_u32 s36, s8, s6
	s_addc_u32 s37, s9, s7
	s_cmp_lg_u64 s[16:17], 0
	s_mov_b32 s6, s18
	s_cselect_b32 s38, -1, 0
	s_ashr_i32 s7, s18, 31
	s_lshl_b64 s[6:7], s[6:7], 3
	s_add_u32 s39, s16, s6
	s_addc_u32 s40, s17, s7
	s_cmp_lg_u64 s[10:11], 0
	v_cmp_eq_u32_e64 s6, 0, v3
	s_cselect_b32 s41, -1, 0
	s_cmp_eq_u64 s[12:13], 0
	s_cselect_b32 s42, -1, 0
	s_cmp_lg_u64 s[8:9], 0
	s_cselect_b32 s43, -1, 0
	s_min_i32 s7, s34, s19
	s_cmp_gt_i32 s7, 0
	s_cselect_b32 s7, -1, 0
	s_and_b32 s46, s7, s43
	s_branch .LBB28_4
.LBB28_2:                               ;   in Loop: Header=BB28_4 Depth=1
	s_or_b32 exec_lo, exec_lo, s8
	s_andn2_b32 s7, s50, exec_lo
	s_and_b32 s8, s16, exec_lo
	s_andn2_b32 s49, s49, exec_lo
	s_or_b32 s50, s7, s8
	s_orn2_b32 s31, s21, exec_lo
.LBB28_3:                               ;   in Loop: Header=BB28_4 Depth=1
	s_or_b32 exec_lo, exec_lo, s9
	s_and_b32 s7, exec_lo, s31
	s_or_b32 s47, s7, s47
	s_andn2_b32 s7, s44, exec_lo
	s_and_b32 s8, s50, exec_lo
	s_andn2_b32 s9, s48, exec_lo
	s_and_b32 s16, s49, exec_lo
	s_or_b32 s44, s7, s8
	s_or_b32 s48, s9, s16
	s_andn2_b32 exec_lo, exec_lo, s47
	s_cbranch_execz .LBB28_66
.LBB28_4:                               ; =>This Loop Header: Depth=1
                                        ;     Child Loop BB28_11 Depth 2
                                        ;     Child Loop BB28_15 Depth 2
                                        ;       Child Loop BB28_18 Depth 3
                                        ;         Child Loop BB28_22 Depth 4
                                        ;     Child Loop BB28_33 Depth 2
                                        ;     Child Loop BB28_47 Depth 2
                                        ;       Child Loop BB28_49 Depth 3
                                        ;         Child Loop BB28_54 Depth 4
                                        ;     Child Loop BB28_58 Depth 2
	s_ashr_i32 s21, s20, 31
	s_andn2_b32 vcc_lo, exec_lo, s38
	s_mov_b64 s[16:17], 0
	s_cbranch_vccnz .LBB28_6
; %bb.5:                                ;   in Loop: Header=BB28_4 Depth=1
	s_mul_i32 s7, s22, s21
	s_mul_hi_u32 s8, s22, s20
	s_mul_i32 s9, s23, s20
	s_add_i32 s7, s8, s7
	s_mul_i32 s8, s22, s20
	s_add_i32 s9, s7, s9
	s_lshl_b64 s[8:9], s[8:9], 3
	s_add_u32 s16, s39, s8
	s_addc_u32 s17, s40, s9
.LBB28_6:                               ;   in Loop: Header=BB28_4 Depth=1
	s_andn2_b32 vcc_lo, exec_lo, s41
	s_mov_b32 s30, s34
	s_cbranch_vccnz .LBB28_8
; %bb.7:                                ;   in Loop: Header=BB28_4 Depth=1
	s_lshl_b64 s[8:9], s[20:21], 2
	s_add_u32 s8, s10, s8
	s_addc_u32 s9, s11, s9
	global_load_dword v3, v4, s[8:9]
	s_waitcnt vmcnt(0)
	v_readfirstlane_b32 s30, v3
.LBB28_8:                               ;   in Loop: Header=BB28_4 Depth=1
	s_cmp_lt_i32 s30, 1
	s_mov_b32 s31, -1
	s_cselect_b32 s7, -1, 0
	s_or_b32 s7, s42, s7
	s_barrier
	s_and_b32 vcc_lo, exec_lo, s7
	s_mov_b32 s7, -1
	buffer_gl0_inv
	s_cbranch_vccnz .LBB28_42
; %bb.9:                                ;   in Loop: Header=BB28_4 Depth=1
	s_load_dwordx2 s[8:9], s[24:25], 0xc
	s_waitcnt lgkmcnt(0)
	s_barrier
	buffer_gl0_inv
	s_lshr_b32 s7, s8, 16
	s_and_b32 s8, s8, 0xffff
	s_mul_i32 s51, s7, s8
	v_mul_u32_u24_e32 v5, s8, v1
	v_mul_lo_u32 v3, s51, v2
	s_and_b32 s7, s9, 0xffff
	s_mul_i32 s51, s51, s7
	v_add3_u32 v9, v5, v0, v3
	v_cmp_gt_u32_e32 vcc_lo, s30, v9
	s_and_b32 s8, s43, vcc_lo
	s_and_saveexec_b32 s7, s8
	s_cbranch_execz .LBB28_12
; %bb.10:                               ;   in Loop: Header=BB28_4 Depth=1
	v_mov_b32_e32 v3, v9
	s_mov_b32 s8, 0
.LBB28_11:                              ;   Parent Loop BB28_4 Depth=1
                                        ; =>  This Inner Loop Header: Depth=2
	v_lshlrev_b64 v[5:6], 2, v[3:4]
	v_add_co_u32 v5, vcc_lo, s36, v5
	v_add_co_ci_u32_e64 v6, null, s37, v6, vcc_lo
	global_store_dword v[5:6], v3, off
	v_add_nc_u32_e32 v3, s51, v3
	v_cmp_le_u32_e32 vcc_lo, s30, v3
	s_or_b32 s8, vcc_lo, s8
	s_andn2_b32 exec_lo, exec_lo, s8
	s_cbranch_execnz .LBB28_11
.LBB28_12:                              ;   in Loop: Header=BB28_4 Depth=1
	s_or_b32 exec_lo, exec_lo, s7
	s_mul_i32 s7, s14, s21
	s_mul_hi_u32 s8, s14, s20
	s_mul_i32 s9, s15, s20
	s_add_i32 s7, s8, s7
	s_mul_i32 s8, s14, s20
	s_add_i32 s9, s7, s9
	s_waitcnt_vscnt null, 0x0
	s_lshl_b64 s[8:9], s[8:9], 3
	s_barrier
	s_add_u32 s21, s12, s8
	s_addc_u32 s52, s13, s9
	buffer_gl0_inv
	s_and_saveexec_b32 s7, s6
	s_cbranch_execz .LBB28_29
; %bb.13:                               ;   in Loop: Header=BB28_4 Depth=1
	s_mov_b32 s8, 0
	s_branch .LBB28_15
.LBB28_14:                              ;   in Loop: Header=BB28_15 Depth=2
	s_add_i32 s8, s8, 1
	s_cmp_eq_u32 s8, 8
	s_cbranch_scc1 .LBB28_29
.LBB28_15:                              ;   Parent Loop BB28_4 Depth=1
                                        ; =>  This Loop Header: Depth=2
                                        ;       Child Loop BB28_18 Depth 3
                                        ;         Child Loop BB28_22 Depth 4
	s_mov_b32 s9, s27
	s_getpc_b64 s[18:19]
	s_add_u32 s18, s18, __const._ZN9rocsolver6v33100L20shell_sort_ascendingIdiEEvT0_PT_PS2_.gaps@rel32@lo+4
	s_addc_u32 s19, s19, __const._ZN9rocsolver6v33100L20shell_sort_ascendingIdiEEvT0_PT_PS2_.gaps@rel32@hi+12
	s_lshl_b64 s[28:29], s[8:9], 2
	s_add_u32 s18, s18, s28
	s_addc_u32 s19, s19, s29
	s_load_dword s9, s[18:19], 0x0
	s_waitcnt lgkmcnt(0)
	s_cmp_ge_i32 s9, s30
	s_cbranch_scc1 .LBB28_14
; %bb.16:                               ;   in Loop: Header=BB28_15 Depth=2
	s_mov_b32 s53, 0
	s_mov_b32 s18, s9
	s_branch .LBB28_18
.LBB28_17:                              ;   in Loop: Header=BB28_18 Depth=3
	s_add_i32 s18, s18, 1
	s_add_i32 s53, s53, 1
	s_cmp_ge_i32 s18, s30
	s_cbranch_scc1 .LBB28_14
.LBB28_18:                              ;   Parent Loop BB28_4 Depth=1
                                        ;     Parent Loop BB28_15 Depth=2
                                        ; =>    This Loop Header: Depth=3
                                        ;         Child Loop BB28_22 Depth 4
	s_ashr_i32 s19, s18, 31
	s_lshl_b64 s[28:29], s[18:19], 3
	s_add_u32 s28, s21, s28
	s_addc_u32 s29, s52, s29
	s_andn2_b32 vcc_lo, exec_lo, s43
	global_load_dwordx2 v[5:6], v4, s[28:29]
	s_cbranch_vccnz .LBB28_20
; %bb.19:                               ;   in Loop: Header=BB28_18 Depth=3
	s_lshl_b64 s[28:29], s[18:19], 2
	s_add_u32 s28, s36, s28
	s_addc_u32 s29, s37, s29
	global_load_dword v3, v4, s[28:29]
	s_cmp_lt_i32 s18, s9
	s_mov_b64 s[28:29], s[18:19]
	s_mov_b32 s26, s53
	s_cbranch_scc0 .LBB28_22
	s_branch .LBB28_27
.LBB28_20:                              ;   in Loop: Header=BB28_18 Depth=3
	v_mov_b32_e32 v3, 0
	s_cmp_lt_i32 s18, s9
	s_mov_b64 s[28:29], s[18:19]
	s_mov_b32 s26, s53
	s_cbranch_scc0 .LBB28_22
	s_branch .LBB28_27
	.p2align	6
.LBB28_21:                              ;   in Loop: Header=BB28_22 Depth=4
                                        ; implicit-def: $sgpr19
	s_and_b32 vcc_lo, exec_lo, s29
	s_mov_b32 s26, s19
	s_cbranch_vccnz .LBB28_26
.LBB28_22:                              ;   Parent Loop BB28_4 Depth=1
                                        ;     Parent Loop BB28_15 Depth=2
                                        ;       Parent Loop BB28_18 Depth=3
                                        ; =>      This Inner Loop Header: Depth=4
	s_lshl_b64 s[54:55], s[26:27], 3
	s_add_i32 s28, s9, s26
	s_add_u32 s54, s21, s54
	s_addc_u32 s55, s52, s55
	s_mov_b32 s29, -1
	global_load_dwordx2 v[7:8], v4, s[54:55]
	s_waitcnt vmcnt(0)
	v_cmp_ngt_f64_e32 vcc_lo, v[7:8], v[5:6]
	s_cbranch_vccnz .LBB28_21
; %bb.23:                               ;   in Loop: Header=BB28_22 Depth=4
	s_ashr_i32 s29, s28, 31
	s_lshl_b64 s[54:55], s[28:29], 3
	s_add_u32 s54, s21, s54
	s_addc_u32 s55, s52, s55
	s_andn2_b32 vcc_lo, exec_lo, s43
	global_store_dwordx2 v4, v[7:8], s[54:55]
	s_cbranch_vccnz .LBB28_25
; %bb.24:                               ;   in Loop: Header=BB28_22 Depth=4
	s_lshl_b64 s[28:29], s[28:29], 2
	s_add_u32 s28, s36, s28
	s_addc_u32 s29, s37, s29
	s_lshl_b64 s[54:55], s[26:27], 2
	s_add_u32 s54, s36, s54
	s_addc_u32 s55, s37, s55
	global_load_dword v7, v4, s[54:55]
	s_waitcnt vmcnt(0)
	global_store_dword v4, v7, s[28:29]
.LBB28_25:                              ;   in Loop: Header=BB28_22 Depth=4
	s_sub_i32 s19, s26, s9
	s_cmp_lt_i32 s26, s9
	s_mov_b32 s28, s26
	s_cselect_b32 s29, -1, 0
	s_and_b32 vcc_lo, exec_lo, s29
	s_mov_b32 s26, s19
	s_cbranch_vccz .LBB28_22
.LBB28_26:                              ;   in Loop: Header=BB28_18 Depth=3
	s_ashr_i32 s29, s28, 31
.LBB28_27:                              ;   in Loop: Header=BB28_18 Depth=3
	s_lshl_b64 s[54:55], s[28:29], 3
	s_add_u32 s54, s21, s54
	s_addc_u32 s55, s52, s55
	s_andn2_b32 vcc_lo, exec_lo, s43
	s_waitcnt vmcnt(0)
	global_store_dwordx2 v4, v[5:6], s[54:55]
	s_cbranch_vccnz .LBB28_17
; %bb.28:                               ;   in Loop: Header=BB28_18 Depth=3
	s_lshl_b64 s[28:29], s[28:29], 2
	s_add_u32 s28, s36, s28
	s_addc_u32 s29, s37, s29
	global_store_dword v4, v3, s[28:29]
	s_branch .LBB28_17
.LBB28_29:                              ;   in Loop: Header=BB28_4 Depth=1
	s_or_b32 exec_lo, exec_lo, s7
	s_cmp_lt_u32 s30, 2
	s_waitcnt_vscnt null, 0x0
	s_cselect_b32 s18, -1, 0
	s_barrier
	s_and_b32 vcc_lo, exec_lo, s18
	buffer_gl0_inv
	s_cbranch_vccnz .LBB28_39
; %bb.30:                               ;   in Loop: Header=BB28_4 Depth=1
	s_add_i32 s9, s30, -1
	s_mov_b32 s18, -1
	s_mov_b32 s8, exec_lo
	v_cmpx_gt_u32_e64 s9, v9
	s_cbranch_execz .LBB28_38
; %bb.31:                               ;   in Loop: Header=BB28_4 Depth=1
	v_mov_b32_e32 v3, v9
	s_mov_b32 s18, 0
                                        ; implicit-def: $sgpr19
	s_inst_prefetch 0x1
	s_branch .LBB28_33
	.p2align	6
.LBB28_32:                              ;   in Loop: Header=BB28_33 Depth=2
	s_or_b32 exec_lo, exec_lo, s29
	s_xor_b32 s26, s28, -1
	s_and_b32 s7, exec_lo, s7
	s_or_b32 s18, s7, s18
	s_andn2_b32 s7, s19, exec_lo
	s_and_b32 s19, s26, exec_lo
	s_or_b32 s19, s7, s19
	s_andn2_b32 exec_lo, exec_lo, s18
	s_cbranch_execz .LBB28_37
.LBB28_33:                              ;   Parent Loop BB28_4 Depth=1
                                        ; =>  This Inner Loop Header: Depth=2
	v_lshlrev_b64 v[5:6], 3, v[3:4]
	s_mov_b32 s28, exec_lo
	v_add_co_u32 v5, vcc_lo, s21, v5
	v_add_co_ci_u32_e64 v6, null, s52, v6, vcc_lo
	global_load_dwordx2 v[7:8], v[5:6], off
	s_waitcnt vmcnt(0)
	v_cmp_u_f64_e64 s26, v[7:8], v[7:8]
	v_cmpx_o_f64_e32 v[7:8], v[7:8]
	s_cbranch_execz .LBB28_35
; %bb.34:                               ;   in Loop: Header=BB28_33 Depth=2
	global_load_dwordx2 v[5:6], v[5:6], off offset:8
	s_andn2_b32 s26, s26, exec_lo
	s_waitcnt vmcnt(0)
	v_cmp_u_f64_e32 vcc_lo, v[5:6], v[5:6]
	v_cmp_le_f64_e64 s7, v[7:8], v[5:6]
	s_or_b32 s7, vcc_lo, s7
	s_and_b32 s7, s7, exec_lo
	s_or_b32 s26, s26, s7
.LBB28_35:                              ;   in Loop: Header=BB28_33 Depth=2
	s_or_b32 exec_lo, exec_lo, s28
	s_mov_b32 s7, -1
	s_mov_b32 s28, -1
	s_and_saveexec_b32 s29, s26
	s_cbranch_execz .LBB28_32
; %bb.36:                               ;   in Loop: Header=BB28_33 Depth=2
	v_add_nc_u32_e32 v3, s51, v3
	s_xor_b32 s28, exec_lo, -1
	v_cmp_le_u32_e32 vcc_lo, s9, v3
	s_orn2_b32 s7, vcc_lo, exec_lo
	s_branch .LBB28_32
.LBB28_37:                              ;   in Loop: Header=BB28_4 Depth=1
	s_inst_prefetch 0x2
	s_or_b32 exec_lo, exec_lo, s18
	s_orn2_b32 s18, s19, exec_lo
.LBB28_38:                              ;   in Loop: Header=BB28_4 Depth=1
	s_or_b32 exec_lo, exec_lo, s8
.LBB28_39:                              ;   in Loop: Header=BB28_4 Depth=1
	s_mov_b32 s7, 0
	s_and_saveexec_b32 s8, s18
	s_cbranch_execz .LBB28_41
; %bb.40:                               ;   in Loop: Header=BB28_4 Depth=1
	s_mov_b32 s7, exec_lo
	s_barrier
	buffer_gl0_inv
.LBB28_41:                              ;   in Loop: Header=BB28_4 Depth=1
	s_or_b32 exec_lo, exec_lo, s8
.LBB28_42:                              ;   in Loop: Header=BB28_4 Depth=1
	s_andn2_b32 s50, s50, exec_lo
	s_or_b32 s49, s49, exec_lo
	s_and_saveexec_b32 s9, s7
	s_cbranch_execz .LBB28_3
; %bb.43:                               ;   in Loop: Header=BB28_4 Depth=1
	s_cmp_lg_u64 s[16:17], 0
	s_mov_b32 s21, -1
	s_cselect_b32 s7, -1, 0
	s_and_b32 s7, s7, s46
	s_barrier
	s_and_b32 vcc_lo, exec_lo, s7
	s_mov_b32 s7, -1
	buffer_gl0_inv
	s_cbranch_vccz .LBB28_64
; %bb.44:                               ;   in Loop: Header=BB28_4 Depth=1
	s_load_dwordx2 s[18:19], s[24:25], 0xc
	s_waitcnt lgkmcnt(0)
	s_lshr_b32 s7, s18, 16
	s_and_b32 s8, s18, 0xffff
	s_mul_i32 s52, s7, s8
	v_mul_u32_u24_e32 v5, s8, v1
	v_mul_lo_u32 v3, s52, v2
	s_and_b32 s7, s19, 0xffff
	s_cmp_lt_i32 s30, 0
	s_mul_i32 s52, s52, s7
	s_cselect_b32 s51, s34, s30
	s_cmp_eq_u32 s51, 0
	v_add3_u32 v5, v5, v0, v3
	s_cbranch_scc1 .LBB28_55
; %bb.45:                               ;   in Loop: Header=BB28_4 Depth=1
	v_cmp_eq_u32_e64 s7, 0, v5
	v_cmp_gt_u32_e64 s8, s34, v5
	s_mov_b32 s26, 0
	s_branch .LBB28_47
.LBB28_46:                              ;   in Loop: Header=BB28_47 Depth=2
	s_add_i32 s26, s26, 1
	s_cmp_eq_u32 s26, s51
	s_cbranch_scc1 .LBB28_55
.LBB28_47:                              ;   Parent Loop BB28_4 Depth=1
                                        ; =>  This Loop Header: Depth=2
                                        ;       Child Loop BB28_49 Depth 3
                                        ;         Child Loop BB28_54 Depth 4
	s_lshl_b64 s[18:19], s[26:27], 2
	s_add_u32 s18, s36, s18
	s_addc_u32 s19, s37, s19
	s_barrier
	s_branch .LBB28_49
.LBB28_48:                              ;   in Loop: Header=BB28_49 Depth=3
	s_or_b32 exec_lo, exec_lo, s30
	s_waitcnt_vscnt null, 0x0
	s_barrier
.LBB28_49:                              ;   Parent Loop BB28_4 Depth=1
                                        ;     Parent Loop BB28_47 Depth=2
                                        ; =>    This Loop Header: Depth=3
                                        ;         Child Loop BB28_54 Depth 4
	buffer_gl0_inv
	global_load_dword v3, v4, s[18:19]
	s_waitcnt vmcnt(0)
	v_cmp_eq_u32_e32 vcc_lo, s26, v3
	v_readfirstlane_b32 s28, v3
	s_cbranch_vccnz .LBB28_46
; %bb.50:                               ;   in Loop: Header=BB28_49 Depth=3
	s_ashr_i32 s29, s28, 31
	s_lshl_b64 s[30:31], s[28:29], 2
	s_add_u32 s30, s36, s30
	s_addc_u32 s31, s37, s31
	global_load_dword v3, v4, s[30:31]
	s_waitcnt vmcnt(0)
	s_barrier
	buffer_gl0_inv
	v_readfirstlane_b32 s53, v3
	s_and_saveexec_b32 s54, s7
	s_cbranch_execz .LBB28_52
; %bb.51:                               ;   in Loop: Header=BB28_49 Depth=3
	v_mov_b32_e32 v3, s28
	v_mov_b32_e32 v6, s53
	global_store_dword v4, v3, s[30:31]
	global_store_dword v4, v6, s[18:19]
.LBB28_52:                              ;   in Loop: Header=BB28_49 Depth=3
	s_or_b32 exec_lo, exec_lo, s54
	s_waitcnt_vscnt null, 0x0
	s_barrier
	buffer_gl0_inv
	s_and_saveexec_b32 s30, s8
	s_cbranch_execz .LBB28_48
; %bb.53:                               ;   in Loop: Header=BB28_49 Depth=3
	s_mul_i32 s29, s29, s45
	s_mul_hi_u32 s31, s28, s45
	s_mul_i32 s28, s28, s45
	s_add_i32 s29, s31, s29
	s_ashr_i32 s31, s53, 31
	s_mul_hi_u32 s54, s53, s45
	s_mul_i32 s31, s31, s45
	s_lshl_b64 s[28:29], s[28:29], 3
	s_add_i32 s55, s54, s31
	s_mul_i32 s54, s53, s45
	s_add_u32 s28, s16, s28
	s_addc_u32 s29, s17, s29
	s_lshl_b64 s[54:55], s[54:55], 3
	v_mov_b32_e32 v3, v5
	s_add_u32 s31, s16, s54
	s_addc_u32 s53, s17, s55
	s_mov_b32 s54, 0
	.p2align	6
.LBB28_54:                              ;   Parent Loop BB28_4 Depth=1
                                        ;     Parent Loop BB28_47 Depth=2
                                        ;       Parent Loop BB28_49 Depth=3
                                        ; =>      This Inner Loop Header: Depth=4
	v_lshlrev_b64 v[6:7], 3, v[3:4]
	v_add_nc_u32_e32 v3, s52, v3
	v_add_co_u32 v8, vcc_lo, s31, v6
	v_add_co_ci_u32_e64 v9, null, s53, v7, vcc_lo
	v_add_co_u32 v6, vcc_lo, s28, v6
	v_add_co_ci_u32_e64 v7, null, s29, v7, vcc_lo
	s_clause 0x1
	global_load_dwordx2 v[10:11], v[8:9], off
	global_load_dwordx2 v[12:13], v[6:7], off
	v_cmp_le_u32_e32 vcc_lo, s34, v3
	s_waitcnt vmcnt(1)
	global_store_dwordx2 v[6:7], v[10:11], off
	s_waitcnt vmcnt(0)
	global_store_dwordx2 v[8:9], v[12:13], off
	s_or_b32 s54, vcc_lo, s54
	s_andn2_b32 exec_lo, exec_lo, s54
	s_cbranch_execnz .LBB28_54
	s_branch .LBB28_48
.LBB28_55:                              ;   in Loop: Header=BB28_4 Depth=1
	s_mov_b32 s8, -1
	s_mov_b32 s7, exec_lo
	s_barrier
	buffer_gl0_inv
	v_cmpx_gt_u32_e64 s51, v5
	s_cbranch_execz .LBB28_61
; %bb.56:                               ;   in Loop: Header=BB28_4 Depth=1
	v_mov_b32_e32 v3, v5
	s_mov_b32 s8, 0
                                        ; implicit-def: $sgpr16
                                        ; implicit-def: $sgpr18
                                        ; implicit-def: $sgpr17
	s_inst_prefetch 0x1
	s_branch .LBB28_58
	.p2align	6
.LBB28_57:                              ;   in Loop: Header=BB28_58 Depth=2
	s_or_b32 exec_lo, exec_lo, s19
	s_xor_b32 s19, s17, -1
	s_and_b32 s26, exec_lo, s18
	s_or_b32 s8, s26, s8
	s_andn2_b32 s16, s16, exec_lo
	s_and_b32 s19, s19, exec_lo
	s_or_b32 s16, s16, s19
	s_andn2_b32 exec_lo, exec_lo, s8
	s_cbranch_execz .LBB28_60
.LBB28_58:                              ;   Parent Loop BB28_4 Depth=1
                                        ; =>  This Inner Loop Header: Depth=2
	v_lshlrev_b64 v[5:6], 2, v[3:4]
	s_or_b32 s17, s17, exec_lo
	s_or_b32 s18, s18, exec_lo
	s_mov_b32 s19, exec_lo
	v_add_co_u32 v5, vcc_lo, s36, v5
	v_add_co_ci_u32_e64 v6, null, s37, v6, vcc_lo
	global_load_dword v5, v[5:6], off
	s_waitcnt vmcnt(0)
	v_cmpx_eq_u32_e64 v3, v5
	s_cbranch_execz .LBB28_57
; %bb.59:                               ;   in Loop: Header=BB28_58 Depth=2
	v_add_nc_u32_e32 v3, s52, v3
	s_andn2_b32 s18, s18, exec_lo
	s_andn2_b32 s17, s17, exec_lo
	v_cmp_le_u32_e32 vcc_lo, s51, v3
	s_and_b32 s26, vcc_lo, exec_lo
	s_or_b32 s18, s18, s26
	s_branch .LBB28_57
.LBB28_60:                              ;   in Loop: Header=BB28_4 Depth=1
	s_inst_prefetch 0x2
	s_or_b32 exec_lo, exec_lo, s8
	s_orn2_b32 s8, s16, exec_lo
.LBB28_61:                              ;   in Loop: Header=BB28_4 Depth=1
	s_or_b32 exec_lo, exec_lo, s7
	s_mov_b32 s7, 0
	s_and_saveexec_b32 s16, s8
	s_cbranch_execz .LBB28_63
; %bb.62:                               ;   in Loop: Header=BB28_4 Depth=1
	s_mov_b32 s7, exec_lo
	s_barrier
	buffer_gl0_inv
.LBB28_63:                              ;   in Loop: Header=BB28_4 Depth=1
	s_or_b32 exec_lo, exec_lo, s16
.LBB28_64:                              ;   in Loop: Header=BB28_4 Depth=1
	s_mov_b32 s16, -1
	s_and_saveexec_b32 s8, s7
	s_cbranch_execz .LBB28_2
; %bb.65:                               ;   in Loop: Header=BB28_4 Depth=1
	s_add_i32 s20, s20, s35
	s_cmp_ge_i32 s20, s33
	s_barrier
	s_cselect_b32 s7, -1, 0
	s_xor_b32 s16, exec_lo, -1
	s_orn2_b32 s21, s7, exec_lo
	buffer_gl0_inv
	s_branch .LBB28_2
.LBB28_66:
	s_or_b32 exec_lo, exec_lo, s47
	s_xor_b32 s6, s48, -1
	s_mov_b32 s25, 0
	s_and_saveexec_b32 s7, s6
	s_xor_b32 s28, exec_lo, s7
	s_cbranch_execnz .LBB28_71
; %bb.67:
	s_andn2_saveexec_b32 s26, s28
	s_cbranch_execnz .LBB28_74
.LBB28_68:
	s_or_b32 exec_lo, exec_lo, s26
	s_and_saveexec_b32 s4, s25
.LBB28_69:
	; divergent unreachable
.LBB28_70:
	s_endpgm
.LBB28_71:
	s_mov_b32 s6, 0
	s_and_saveexec_b32 s7, s44
	s_xor_b32 s25, exec_lo, s7
	s_cbranch_execz .LBB28_73
; %bb.72:
	s_add_u32 s8, s4, 0x48
	s_addc_u32 s9, s5, 0
	s_getpc_b64 s[6:7]
	s_add_u32 s6, s6, .str.8@rel32@lo+4
	s_addc_u32 s7, s7, .str.8@rel32@hi+12
	s_getpc_b64 s[10:11]
	s_add_u32 s10, s10, __PRETTY_FUNCTION__._ZN9rocsolver6v33100L12permute_swapIdiEEvT0_PT_S2_PS2_S2_@rel32@lo+4
	s_addc_u32 s11, s11, __PRETTY_FUNCTION__._ZN9rocsolver6v33100L12permute_swapIdiEEvT0_PT_S2_PS2_S2_@rel32@hi+12
	v_mov_b32_e32 v0, s6
	v_mov_b32_e32 v1, s7
	;; [unrolled: 1-line block ×5, first 2 shown]
	s_getpc_b64 s[12:13]
	s_add_u32 s12, s12, __assert_fail@rel32@lo+4
	s_addc_u32 s13, s13, __assert_fail@rel32@hi+12
	s_mov_b64 s[26:27], s[4:5]
	s_swappc_b64 s[30:31], s[12:13]
	s_mov_b64 s[4:5], s[26:27]
	s_mov_b32 s6, exec_lo
.LBB28_73:
	s_or_b32 exec_lo, exec_lo, s25
	s_and_b32 s25, s6, exec_lo
	s_andn2_saveexec_b32 s26, s28
	s_cbranch_execz .LBB28_68
.LBB28_74:
	s_add_u32 s8, s4, 0x48
	s_addc_u32 s9, s5, 0
	s_getpc_b64 s[4:5]
	s_add_u32 s4, s4, .str.5@rel32@lo+4
	s_addc_u32 s5, s5, .str.5@rel32@hi+12
	s_getpc_b64 s[6:7]
	s_add_u32 s6, s6, __PRETTY_FUNCTION__._ZN9rocsolver6v33100L20shell_sort_ascendingIdiEEvT0_PT_PS2_@rel32@lo+4
	s_addc_u32 s7, s7, __PRETTY_FUNCTION__._ZN9rocsolver6v33100L20shell_sort_ascendingIdiEEvT0_PT_PS2_@rel32@hi+12
	v_mov_b32_e32 v0, s4
	v_mov_b32_e32 v1, s5
	;; [unrolled: 1-line block ×5, first 2 shown]
	s_getpc_b64 s[10:11]
	s_add_u32 s10, s10, __assert_fail@rel32@lo+4
	s_addc_u32 s11, s11, __assert_fail@rel32@hi+12
	s_swappc_b64 s[30:31], s[10:11]
	s_or_b32 s25, s25, exec_lo
	s_or_b32 exec_lo, exec_lo, s26
	s_and_saveexec_b32 s4, s25
	s_cbranch_execnz .LBB28_69
	s_branch .LBB28_70
	.section	.rodata,"a",@progbits
	.p2align	6, 0x0
	.amdhsa_kernel _ZN9rocsolver6v33100L11stedcx_sortIddPdEEviPT0_lT1_iiliPiS6_
		.amdhsa_group_segment_fixed_size 0
		.amdhsa_private_segment_fixed_size 64
		.amdhsa_kernarg_size 328
		.amdhsa_user_sgpr_count 8
		.amdhsa_user_sgpr_private_segment_buffer 1
		.amdhsa_user_sgpr_dispatch_ptr 0
		.amdhsa_user_sgpr_queue_ptr 0
		.amdhsa_user_sgpr_kernarg_segment_ptr 1
		.amdhsa_user_sgpr_dispatch_id 0
		.amdhsa_user_sgpr_flat_scratch_init 1
		.amdhsa_user_sgpr_private_segment_size 0
		.amdhsa_wavefront_size32 1
		.amdhsa_uses_dynamic_stack 0
		.amdhsa_system_sgpr_private_segment_wavefront_offset 1
		.amdhsa_system_sgpr_workgroup_id_x 1
		.amdhsa_system_sgpr_workgroup_id_y 0
		.amdhsa_system_sgpr_workgroup_id_z 1
		.amdhsa_system_sgpr_workgroup_info 0
		.amdhsa_system_vgpr_workitem_id 2
		.amdhsa_next_free_vgpr 50
		.amdhsa_next_free_sgpr 56
		.amdhsa_reserve_vcc 1
		.amdhsa_reserve_flat_scratch 1
		.amdhsa_float_round_mode_32 0
		.amdhsa_float_round_mode_16_64 0
		.amdhsa_float_denorm_mode_32 3
		.amdhsa_float_denorm_mode_16_64 3
		.amdhsa_dx10_clamp 1
		.amdhsa_ieee_mode 1
		.amdhsa_fp16_overflow 0
		.amdhsa_workgroup_processor_mode 1
		.amdhsa_memory_ordered 1
		.amdhsa_forward_progress 1
		.amdhsa_shared_vgpr_count 0
		.amdhsa_exception_fp_ieee_invalid_op 0
		.amdhsa_exception_fp_denorm_src 0
		.amdhsa_exception_fp_ieee_div_zero 0
		.amdhsa_exception_fp_ieee_overflow 0
		.amdhsa_exception_fp_ieee_underflow 0
		.amdhsa_exception_fp_ieee_inexact 0
		.amdhsa_exception_int_div_zero 0
	.end_amdhsa_kernel
	.section	.text._ZN9rocsolver6v33100L11stedcx_sortIddPdEEviPT0_lT1_iiliPiS6_,"axG",@progbits,_ZN9rocsolver6v33100L11stedcx_sortIddPdEEviPT0_lT1_iiliPiS6_,comdat
.Lfunc_end28:
	.size	_ZN9rocsolver6v33100L11stedcx_sortIddPdEEviPT0_lT1_iiliPiS6_, .Lfunc_end28-_ZN9rocsolver6v33100L11stedcx_sortIddPdEEviPT0_lT1_iiliPiS6_
                                        ; -- End function
	.set _ZN9rocsolver6v33100L11stedcx_sortIddPdEEviPT0_lT1_iiliPiS6_.num_vgpr, max(14, .L__assert_fail.num_vgpr)
	.set _ZN9rocsolver6v33100L11stedcx_sortIddPdEEviPT0_lT1_iiliPiS6_.num_agpr, max(0, .L__assert_fail.num_agpr)
	.set _ZN9rocsolver6v33100L11stedcx_sortIddPdEEviPT0_lT1_iiliPiS6_.numbered_sgpr, max(56, .L__assert_fail.numbered_sgpr)
	.set _ZN9rocsolver6v33100L11stedcx_sortIddPdEEviPT0_lT1_iiliPiS6_.num_named_barrier, max(0, .L__assert_fail.num_named_barrier)
	.set _ZN9rocsolver6v33100L11stedcx_sortIddPdEEviPT0_lT1_iiliPiS6_.private_seg_size, 0+max(.L__assert_fail.private_seg_size)
	.set _ZN9rocsolver6v33100L11stedcx_sortIddPdEEviPT0_lT1_iiliPiS6_.uses_vcc, or(1, .L__assert_fail.uses_vcc)
	.set _ZN9rocsolver6v33100L11stedcx_sortIddPdEEviPT0_lT1_iiliPiS6_.uses_flat_scratch, or(1, .L__assert_fail.uses_flat_scratch)
	.set _ZN9rocsolver6v33100L11stedcx_sortIddPdEEviPT0_lT1_iiliPiS6_.has_dyn_sized_stack, or(0, .L__assert_fail.has_dyn_sized_stack)
	.set _ZN9rocsolver6v33100L11stedcx_sortIddPdEEviPT0_lT1_iiliPiS6_.has_recursion, or(0, .L__assert_fail.has_recursion)
	.set _ZN9rocsolver6v33100L11stedcx_sortIddPdEEviPT0_lT1_iiliPiS6_.has_indirect_call, or(0, .L__assert_fail.has_indirect_call)
	.section	.AMDGPU.csdata,"",@progbits
; Kernel info:
; codeLenInByte = 2576
; TotalNumSgprs: 58
; NumVgprs: 50
; ScratchSize: 64
; MemoryBound: 0
; FloatMode: 240
; IeeeMode: 1
; LDSByteSize: 0 bytes/workgroup (compile time only)
; SGPRBlocks: 0
; VGPRBlocks: 6
; NumSGPRsForWavesPerEU: 58
; NumVGPRsForWavesPerEU: 50
; Occupancy: 16
; WaveLimiterHint : 1
; COMPUTE_PGM_RSRC2:SCRATCH_EN: 1
; COMPUTE_PGM_RSRC2:USER_SGPR: 8
; COMPUTE_PGM_RSRC2:TRAP_HANDLER: 0
; COMPUTE_PGM_RSRC2:TGID_X_EN: 1
; COMPUTE_PGM_RSRC2:TGID_Y_EN: 0
; COMPUTE_PGM_RSRC2:TGID_Z_EN: 1
; COMPUTE_PGM_RSRC2:TIDIG_COMP_CNT: 2
	.section	.text._ZN9rocsolver6v33100L16reset_batch_infoI19rocblas_complex_numIfEiiPS3_EEvT2_lT0_T1_,"axG",@progbits,_ZN9rocsolver6v33100L16reset_batch_infoI19rocblas_complex_numIfEiiPS3_EEvT2_lT0_T1_,comdat
	.globl	_ZN9rocsolver6v33100L16reset_batch_infoI19rocblas_complex_numIfEiiPS3_EEvT2_lT0_T1_ ; -- Begin function _ZN9rocsolver6v33100L16reset_batch_infoI19rocblas_complex_numIfEiiPS3_EEvT2_lT0_T1_
	.p2align	8
	.type	_ZN9rocsolver6v33100L16reset_batch_infoI19rocblas_complex_numIfEiiPS3_EEvT2_lT0_T1_,@function
_ZN9rocsolver6v33100L16reset_batch_infoI19rocblas_complex_numIfEiiPS3_EEvT2_lT0_T1_: ; @_ZN9rocsolver6v33100L16reset_batch_infoI19rocblas_complex_numIfEiiPS3_EEvT2_lT0_T1_
; %bb.0:
	s_clause 0x1
	s_load_dword s2, s[4:5], 0x24
	s_load_dwordx2 s[0:1], s[4:5], 0x10
	s_waitcnt lgkmcnt(0)
	s_and_b32 s2, s2, 0xffff
	v_mad_u64_u32 v[0:1], null, s6, s2, v[0:1]
	v_cmp_gt_i32_e32 vcc_lo, s0, v0
	s_and_saveexec_b32 s0, vcc_lo
	s_cbranch_execz .LBB29_2
; %bb.1:
	s_load_dwordx4 s[8:11], s[4:5], 0x0
	s_ashr_i32 s0, s7, 31
	v_ashrrev_i32_e32 v1, 31, v0
	v_cvt_f32_i32_e32 v2, s1
	v_mov_b32_e32 v3, 0
	v_lshlrev_b64 v[0:1], 3, v[0:1]
	s_waitcnt lgkmcnt(0)
	s_mul_hi_u32 s2, s10, s7
	s_mul_i32 s0, s10, s0
	s_mul_i32 s3, s11, s7
	s_add_i32 s0, s2, s0
	s_mul_i32 s2, s10, s7
	s_add_i32 s3, s0, s3
	s_lshl_b64 s[2:3], s[2:3], 3
	s_add_u32 s0, s8, s2
	s_addc_u32 s1, s9, s3
	v_add_co_u32 v0, vcc_lo, s0, v0
	v_add_co_ci_u32_e64 v1, null, s1, v1, vcc_lo
	global_store_dwordx2 v[0:1], v[2:3], off
.LBB29_2:
	s_endpgm
	.section	.rodata,"a",@progbits
	.p2align	6, 0x0
	.amdhsa_kernel _ZN9rocsolver6v33100L16reset_batch_infoI19rocblas_complex_numIfEiiPS3_EEvT2_lT0_T1_
		.amdhsa_group_segment_fixed_size 0
		.amdhsa_private_segment_fixed_size 0
		.amdhsa_kernarg_size 280
		.amdhsa_user_sgpr_count 6
		.amdhsa_user_sgpr_private_segment_buffer 1
		.amdhsa_user_sgpr_dispatch_ptr 0
		.amdhsa_user_sgpr_queue_ptr 0
		.amdhsa_user_sgpr_kernarg_segment_ptr 1
		.amdhsa_user_sgpr_dispatch_id 0
		.amdhsa_user_sgpr_flat_scratch_init 0
		.amdhsa_user_sgpr_private_segment_size 0
		.amdhsa_wavefront_size32 1
		.amdhsa_uses_dynamic_stack 0
		.amdhsa_system_sgpr_private_segment_wavefront_offset 0
		.amdhsa_system_sgpr_workgroup_id_x 1
		.amdhsa_system_sgpr_workgroup_id_y 1
		.amdhsa_system_sgpr_workgroup_id_z 0
		.amdhsa_system_sgpr_workgroup_info 0
		.amdhsa_system_vgpr_workitem_id 0
		.amdhsa_next_free_vgpr 4
		.amdhsa_next_free_sgpr 12
		.amdhsa_reserve_vcc 1
		.amdhsa_reserve_flat_scratch 0
		.amdhsa_float_round_mode_32 0
		.amdhsa_float_round_mode_16_64 0
		.amdhsa_float_denorm_mode_32 3
		.amdhsa_float_denorm_mode_16_64 3
		.amdhsa_dx10_clamp 1
		.amdhsa_ieee_mode 1
		.amdhsa_fp16_overflow 0
		.amdhsa_workgroup_processor_mode 1
		.amdhsa_memory_ordered 1
		.amdhsa_forward_progress 1
		.amdhsa_shared_vgpr_count 0
		.amdhsa_exception_fp_ieee_invalid_op 0
		.amdhsa_exception_fp_denorm_src 0
		.amdhsa_exception_fp_ieee_div_zero 0
		.amdhsa_exception_fp_ieee_overflow 0
		.amdhsa_exception_fp_ieee_underflow 0
		.amdhsa_exception_fp_ieee_inexact 0
		.amdhsa_exception_int_div_zero 0
	.end_amdhsa_kernel
	.section	.text._ZN9rocsolver6v33100L16reset_batch_infoI19rocblas_complex_numIfEiiPS3_EEvT2_lT0_T1_,"axG",@progbits,_ZN9rocsolver6v33100L16reset_batch_infoI19rocblas_complex_numIfEiiPS3_EEvT2_lT0_T1_,comdat
.Lfunc_end29:
	.size	_ZN9rocsolver6v33100L16reset_batch_infoI19rocblas_complex_numIfEiiPS3_EEvT2_lT0_T1_, .Lfunc_end29-_ZN9rocsolver6v33100L16reset_batch_infoI19rocblas_complex_numIfEiiPS3_EEvT2_lT0_T1_
                                        ; -- End function
	.set _ZN9rocsolver6v33100L16reset_batch_infoI19rocblas_complex_numIfEiiPS3_EEvT2_lT0_T1_.num_vgpr, 4
	.set _ZN9rocsolver6v33100L16reset_batch_infoI19rocblas_complex_numIfEiiPS3_EEvT2_lT0_T1_.num_agpr, 0
	.set _ZN9rocsolver6v33100L16reset_batch_infoI19rocblas_complex_numIfEiiPS3_EEvT2_lT0_T1_.numbered_sgpr, 12
	.set _ZN9rocsolver6v33100L16reset_batch_infoI19rocblas_complex_numIfEiiPS3_EEvT2_lT0_T1_.num_named_barrier, 0
	.set _ZN9rocsolver6v33100L16reset_batch_infoI19rocblas_complex_numIfEiiPS3_EEvT2_lT0_T1_.private_seg_size, 0
	.set _ZN9rocsolver6v33100L16reset_batch_infoI19rocblas_complex_numIfEiiPS3_EEvT2_lT0_T1_.uses_vcc, 1
	.set _ZN9rocsolver6v33100L16reset_batch_infoI19rocblas_complex_numIfEiiPS3_EEvT2_lT0_T1_.uses_flat_scratch, 0
	.set _ZN9rocsolver6v33100L16reset_batch_infoI19rocblas_complex_numIfEiiPS3_EEvT2_lT0_T1_.has_dyn_sized_stack, 0
	.set _ZN9rocsolver6v33100L16reset_batch_infoI19rocblas_complex_numIfEiiPS3_EEvT2_lT0_T1_.has_recursion, 0
	.set _ZN9rocsolver6v33100L16reset_batch_infoI19rocblas_complex_numIfEiiPS3_EEvT2_lT0_T1_.has_indirect_call, 0
	.section	.AMDGPU.csdata,"",@progbits
; Kernel info:
; codeLenInByte = 152
; TotalNumSgprs: 14
; NumVgprs: 4
; ScratchSize: 0
; MemoryBound: 0
; FloatMode: 240
; IeeeMode: 1
; LDSByteSize: 0 bytes/workgroup (compile time only)
; SGPRBlocks: 0
; VGPRBlocks: 0
; NumSGPRsForWavesPerEU: 14
; NumVGPRsForWavesPerEU: 4
; Occupancy: 16
; WaveLimiterHint : 0
; COMPUTE_PGM_RSRC2:SCRATCH_EN: 0
; COMPUTE_PGM_RSRC2:USER_SGPR: 6
; COMPUTE_PGM_RSRC2:TRAP_HANDLER: 0
; COMPUTE_PGM_RSRC2:TGID_X_EN: 1
; COMPUTE_PGM_RSRC2:TGID_Y_EN: 1
; COMPUTE_PGM_RSRC2:TGID_Z_EN: 0
; COMPUTE_PGM_RSRC2:TIDIG_COMP_CNT: 0
	.section	.text._ZN9rocsolver6v33100L10init_identI19rocblas_complex_numIfEPS3_EEviiT0_iil,"axG",@progbits,_ZN9rocsolver6v33100L10init_identI19rocblas_complex_numIfEPS3_EEviiT0_iil,comdat
	.globl	_ZN9rocsolver6v33100L10init_identI19rocblas_complex_numIfEPS3_EEviiT0_iil ; -- Begin function _ZN9rocsolver6v33100L10init_identI19rocblas_complex_numIfEPS3_EEviiT0_iil
	.p2align	8
	.type	_ZN9rocsolver6v33100L10init_identI19rocblas_complex_numIfEPS3_EEviiT0_iil,@function
_ZN9rocsolver6v33100L10init_identI19rocblas_complex_numIfEPS3_EEviiT0_iil: ; @_ZN9rocsolver6v33100L10init_identI19rocblas_complex_numIfEPS3_EEviiT0_iil
; %bb.0:
	s_clause 0x1
	s_load_dword s2, s[4:5], 0x2c
	s_load_dwordx2 s[0:1], s[4:5], 0x0
	s_waitcnt lgkmcnt(0)
	s_lshr_b32 s3, s2, 16
	s_and_b32 s2, s2, 0xffff
	v_mad_u64_u32 v[3:4], null, s6, s2, v[0:1]
	v_mad_u64_u32 v[1:2], null, s7, s3, v[1:2]
	v_cmp_gt_u32_e32 vcc_lo, s0, v3
	v_cmp_gt_u32_e64 s0, s1, v1
	s_and_b32 s0, vcc_lo, s0
	s_and_saveexec_b32 s1, s0
	s_cbranch_execz .LBB30_6
; %bb.1:
	s_load_dwordx2 s[0:1], s[4:5], 0x10
	s_mov_b32 s2, exec_lo
                                        ; implicit-def: $vgpr0
	v_cmpx_ne_u32_e64 v3, v1
	s_xor_b32 s2, exec_lo, s2
	s_cbranch_execz .LBB30_3
; %bb.2:
	s_waitcnt lgkmcnt(0)
	v_mad_u64_u32 v[0:1], null, v1, s1, v[3:4]
                                        ; implicit-def: $vgpr3_vgpr4
.LBB30_3:
	s_or_saveexec_b32 s2, s2
	v_mov_b32_e32 v1, 0
	v_mov_b32_e32 v2, 0
	s_xor_b32 exec_lo, exec_lo, s2
	s_cbranch_execz .LBB30_5
; %bb.4:
	s_waitcnt lgkmcnt(0)
	v_mad_u64_u32 v[3:4], null, v3, s1, v[3:4]
	v_mov_b32_e32 v2, 1.0
	v_mov_b32_e32 v0, v3
.LBB30_5:
	s_or_b32 exec_lo, exec_lo, s2
	s_clause 0x1
	s_load_dwordx2 s[2:3], s[4:5], 0x18
	s_load_dwordx2 s[4:5], s[4:5], 0x8
	v_lshlrev_b64 v[3:4], 3, v[0:1]
	s_waitcnt lgkmcnt(0)
	s_mul_i32 s1, s3, s8
	s_mul_hi_u32 s3, s2, s8
	s_mul_i32 s2, s2, s8
	s_add_i32 s3, s3, s1
	s_ashr_i32 s1, s0, 31
	s_lshl_b64 s[2:3], s[2:3], 3
	s_add_u32 s2, s4, s2
	s_addc_u32 s3, s5, s3
	s_lshl_b64 s[0:1], s[0:1], 3
	s_add_u32 s0, s2, s0
	s_addc_u32 s1, s3, s1
	v_add_co_u32 v5, vcc_lo, s0, v3
	v_add_co_ci_u32_e64 v6, null, s1, v4, vcc_lo
	v_mov_b32_e32 v3, v1
	global_store_dwordx2 v[5:6], v[2:3], off
.LBB30_6:
	s_endpgm
	.section	.rodata,"a",@progbits
	.p2align	6, 0x0
	.amdhsa_kernel _ZN9rocsolver6v33100L10init_identI19rocblas_complex_numIfEPS3_EEviiT0_iil
		.amdhsa_group_segment_fixed_size 0
		.amdhsa_private_segment_fixed_size 0
		.amdhsa_kernarg_size 288
		.amdhsa_user_sgpr_count 6
		.amdhsa_user_sgpr_private_segment_buffer 1
		.amdhsa_user_sgpr_dispatch_ptr 0
		.amdhsa_user_sgpr_queue_ptr 0
		.amdhsa_user_sgpr_kernarg_segment_ptr 1
		.amdhsa_user_sgpr_dispatch_id 0
		.amdhsa_user_sgpr_flat_scratch_init 0
		.amdhsa_user_sgpr_private_segment_size 0
		.amdhsa_wavefront_size32 1
		.amdhsa_uses_dynamic_stack 0
		.amdhsa_system_sgpr_private_segment_wavefront_offset 0
		.amdhsa_system_sgpr_workgroup_id_x 1
		.amdhsa_system_sgpr_workgroup_id_y 1
		.amdhsa_system_sgpr_workgroup_id_z 1
		.amdhsa_system_sgpr_workgroup_info 0
		.amdhsa_system_vgpr_workitem_id 1
		.amdhsa_next_free_vgpr 7
		.amdhsa_next_free_sgpr 9
		.amdhsa_reserve_vcc 1
		.amdhsa_reserve_flat_scratch 0
		.amdhsa_float_round_mode_32 0
		.amdhsa_float_round_mode_16_64 0
		.amdhsa_float_denorm_mode_32 3
		.amdhsa_float_denorm_mode_16_64 3
		.amdhsa_dx10_clamp 1
		.amdhsa_ieee_mode 1
		.amdhsa_fp16_overflow 0
		.amdhsa_workgroup_processor_mode 1
		.amdhsa_memory_ordered 1
		.amdhsa_forward_progress 1
		.amdhsa_shared_vgpr_count 0
		.amdhsa_exception_fp_ieee_invalid_op 0
		.amdhsa_exception_fp_denorm_src 0
		.amdhsa_exception_fp_ieee_div_zero 0
		.amdhsa_exception_fp_ieee_overflow 0
		.amdhsa_exception_fp_ieee_underflow 0
		.amdhsa_exception_fp_ieee_inexact 0
		.amdhsa_exception_int_div_zero 0
	.end_amdhsa_kernel
	.section	.text._ZN9rocsolver6v33100L10init_identI19rocblas_complex_numIfEPS3_EEviiT0_iil,"axG",@progbits,_ZN9rocsolver6v33100L10init_identI19rocblas_complex_numIfEPS3_EEviiT0_iil,comdat
.Lfunc_end30:
	.size	_ZN9rocsolver6v33100L10init_identI19rocblas_complex_numIfEPS3_EEviiT0_iil, .Lfunc_end30-_ZN9rocsolver6v33100L10init_identI19rocblas_complex_numIfEPS3_EEviiT0_iil
                                        ; -- End function
	.set _ZN9rocsolver6v33100L10init_identI19rocblas_complex_numIfEPS3_EEviiT0_iil.num_vgpr, 7
	.set _ZN9rocsolver6v33100L10init_identI19rocblas_complex_numIfEPS3_EEviiT0_iil.num_agpr, 0
	.set _ZN9rocsolver6v33100L10init_identI19rocblas_complex_numIfEPS3_EEviiT0_iil.numbered_sgpr, 9
	.set _ZN9rocsolver6v33100L10init_identI19rocblas_complex_numIfEPS3_EEviiT0_iil.num_named_barrier, 0
	.set _ZN9rocsolver6v33100L10init_identI19rocblas_complex_numIfEPS3_EEviiT0_iil.private_seg_size, 0
	.set _ZN9rocsolver6v33100L10init_identI19rocblas_complex_numIfEPS3_EEviiT0_iil.uses_vcc, 1
	.set _ZN9rocsolver6v33100L10init_identI19rocblas_complex_numIfEPS3_EEviiT0_iil.uses_flat_scratch, 0
	.set _ZN9rocsolver6v33100L10init_identI19rocblas_complex_numIfEPS3_EEviiT0_iil.has_dyn_sized_stack, 0
	.set _ZN9rocsolver6v33100L10init_identI19rocblas_complex_numIfEPS3_EEviiT0_iil.has_recursion, 0
	.set _ZN9rocsolver6v33100L10init_identI19rocblas_complex_numIfEPS3_EEviiT0_iil.has_indirect_call, 0
	.section	.AMDGPU.csdata,"",@progbits
; Kernel info:
; codeLenInByte = 268
; TotalNumSgprs: 11
; NumVgprs: 7
; ScratchSize: 0
; MemoryBound: 0
; FloatMode: 240
; IeeeMode: 1
; LDSByteSize: 0 bytes/workgroup (compile time only)
; SGPRBlocks: 0
; VGPRBlocks: 0
; NumSGPRsForWavesPerEU: 11
; NumVGPRsForWavesPerEU: 7
; Occupancy: 16
; WaveLimiterHint : 0
; COMPUTE_PGM_RSRC2:SCRATCH_EN: 0
; COMPUTE_PGM_RSRC2:USER_SGPR: 6
; COMPUTE_PGM_RSRC2:TRAP_HANDLER: 0
; COMPUTE_PGM_RSRC2:TGID_X_EN: 1
; COMPUTE_PGM_RSRC2:TGID_Y_EN: 1
; COMPUTE_PGM_RSRC2:TGID_Z_EN: 1
; COMPUTE_PGM_RSRC2:TIDIG_COMP_CNT: 1
	.section	.text._ZN9rocsolver6v33100L8copy_matI19rocblas_complex_numIfEfLb1EPS3_TnNSt9enable_ifIX18rocblas_is_complexIT_EEiE4typeELi0EEEvNS0_17copymat_directionEiiT2_iilPT0_13rocblas_fill_17rocblas_diagonal_,"axG",@progbits,_ZN9rocsolver6v33100L8copy_matI19rocblas_complex_numIfEfLb1EPS3_TnNSt9enable_ifIX18rocblas_is_complexIT_EEiE4typeELi0EEEvNS0_17copymat_directionEiiT2_iilPT0_13rocblas_fill_17rocblas_diagonal_,comdat
	.globl	_ZN9rocsolver6v33100L8copy_matI19rocblas_complex_numIfEfLb1EPS3_TnNSt9enable_ifIX18rocblas_is_complexIT_EEiE4typeELi0EEEvNS0_17copymat_directionEiiT2_iilPT0_13rocblas_fill_17rocblas_diagonal_ ; -- Begin function _ZN9rocsolver6v33100L8copy_matI19rocblas_complex_numIfEfLb1EPS3_TnNSt9enable_ifIX18rocblas_is_complexIT_EEiE4typeELi0EEEvNS0_17copymat_directionEiiT2_iilPT0_13rocblas_fill_17rocblas_diagonal_
	.p2align	8
	.type	_ZN9rocsolver6v33100L8copy_matI19rocblas_complex_numIfEfLb1EPS3_TnNSt9enable_ifIX18rocblas_is_complexIT_EEiE4typeELi0EEEvNS0_17copymat_directionEiiT2_iilPT0_13rocblas_fill_17rocblas_diagonal_,@function
_ZN9rocsolver6v33100L8copy_matI19rocblas_complex_numIfEfLb1EPS3_TnNSt9enable_ifIX18rocblas_is_complexIT_EEiE4typeELi0EEEvNS0_17copymat_directionEiiT2_iilPT0_13rocblas_fill_17rocblas_diagonal_: ; @_ZN9rocsolver6v33100L8copy_matI19rocblas_complex_numIfEfLb1EPS3_TnNSt9enable_ifIX18rocblas_is_complexIT_EEiE4typeELi0EEEvNS0_17copymat_directionEiiT2_iilPT0_13rocblas_fill_17rocblas_diagonal_
; %bb.0:
	s_clause 0x1
	s_load_dword s0, s[4:5], 0x44
	s_load_dwordx4 s[12:15], s[4:5], 0x0
	s_waitcnt lgkmcnt(0)
	s_lshr_b32 s1, s0, 16
	s_and_b32 s0, s0, 0xffff
	v_mad_u64_u32 v[2:3], null, s6, s0, v[0:1]
	v_mad_u64_u32 v[0:1], null, s7, s1, v[1:2]
	v_cmp_gt_u32_e32 vcc_lo, s13, v2
	v_cmp_gt_u32_e64 s0, s14, v0
	s_and_b32 s0, s0, vcc_lo
	s_and_saveexec_b32 s1, s0
	s_cbranch_execz .LBB31_16
; %bb.1:
	s_load_dwordx2 s[2:3], s[4:5], 0x30
	s_mov_b32 s9, s13
	s_waitcnt lgkmcnt(0)
	s_cmpk_lt_i32 s2, 0x7a
	s_cbranch_scc1 .LBB31_4
; %bb.2:
	s_cmpk_gt_i32 s2, 0x7a
	s_cbranch_scc0 .LBB31_5
; %bb.3:
	s_cmpk_lg_i32 s2, 0x7b
	s_mov_b32 s1, -1
	s_cselect_b32 s6, -1, 0
	s_cbranch_execz .LBB31_6
	s_branch .LBB31_7
.LBB31_4:
	s_mov_b32 s6, 0
	s_mov_b32 s1, 0
	s_cbranch_execnz .LBB31_8
	s_branch .LBB31_10
.LBB31_5:
	s_mov_b32 s1, 0
	s_mov_b32 s6, 0
.LBB31_6:
	v_cmp_gt_u32_e32 vcc_lo, v2, v0
	v_cmp_le_u32_e64 s0, v2, v0
	s_andn2_b32 s1, s1, exec_lo
	s_andn2_b32 s6, s6, exec_lo
	s_and_b32 s7, vcc_lo, exec_lo
	s_and_b32 s0, s0, exec_lo
	s_or_b32 s1, s1, s7
	s_or_b32 s6, s6, s0
.LBB31_7:
	s_branch .LBB31_10
.LBB31_8:
	s_cmpk_eq_i32 s2, 0x79
	s_mov_b32 s6, -1
	s_cbranch_scc0 .LBB31_10
; %bb.9:
	v_cmp_gt_u32_e32 vcc_lo, v0, v2
	v_cmp_le_u32_e64 s0, v0, v2
	s_andn2_b32 s1, s1, exec_lo
	s_and_b32 s2, vcc_lo, exec_lo
	s_orn2_b32 s6, s0, exec_lo
	s_or_b32 s1, s1, s2
.LBB31_10:
	s_and_saveexec_b32 s0, s6
; %bb.11:
	v_cmp_eq_u32_e32 vcc_lo, v2, v0
	s_cmpk_eq_i32 s3, 0x83
	s_cselect_b32 s2, -1, 0
	s_andn2_b32 s1, s1, exec_lo
	s_and_b32 s2, s2, vcc_lo
	s_and_b32 s2, s2, exec_lo
	s_or_b32 s1, s1, s2
; %bb.12:
	s_or_b32 exec_lo, exec_lo, s0
	s_and_b32 exec_lo, exec_lo, s1
	s_cbranch_execz .LBB31_16
; %bb.13:
	s_load_dwordx8 s[0:7], s[4:5], 0x10
	s_ashr_i32 s10, s13, 31
	s_ashr_i32 s11, s14, 31
	s_mul_i32 s16, s10, s8
	s_mul_hi_u32 s15, s13, s8
	s_mul_i32 s13, s13, s8
	s_mul_i32 s17, s13, s11
	s_waitcnt lgkmcnt(0)
	s_mul_i32 s5, s5, s8
	s_mul_hi_u32 s10, s4, s8
	s_mul_i32 s4, s4, s8
	s_add_i32 s5, s10, s5
	s_ashr_i32 s11, s2, 31
	s_lshl_b64 s[4:5], s[4:5], 3
	s_mov_b32 s10, s2
	s_add_u32 s2, s0, s4
	s_addc_u32 s4, s1, s5
	s_lshl_b64 s[0:1], s[10:11], 3
	s_mul_hi_u32 s5, s13, s14
	s_add_u32 s0, s2, s0
	s_addc_u32 s1, s4, s1
	s_add_i32 s2, s15, s16
	s_add_i32 s4, s5, s17
	s_mul_i32 s2, s2, s14
	s_add_i32 s5, s4, s2
	s_mul_i32 s4, s13, s14
	s_lshl_b64 s[4:5], s[4:5], 2
	s_add_u32 s2, s6, s4
	s_addc_u32 s4, s7, s5
	s_cmp_lg_u32 s12, 0
	s_mov_b32 s5, 0
	s_cbranch_scc0 .LBB31_17
; %bb.14:
	v_mad_u64_u32 v[3:4], null, v0, s9, v[2:3]
	v_mov_b32_e32 v4, 0
	v_lshlrev_b64 v[5:6], 2, v[3:4]
	v_add_co_u32 v5, vcc_lo, s2, v5
	v_add_co_ci_u32_e64 v6, null, s4, v6, vcc_lo
	global_load_dword v1, v[5:6], off
	v_mad_u64_u32 v[5:6], null, v0, s3, v[2:3]
	v_mov_b32_e32 v6, v4
	v_lshlrev_b64 v[3:4], 3, v[5:6]
	v_add_co_u32 v3, vcc_lo, s0, v3
	v_add_co_ci_u32_e64 v4, null, s1, v4, vcc_lo
	s_waitcnt vmcnt(0)
	global_store_dword v[3:4], v1, off
	s_andn2_b32 vcc_lo, exec_lo, s5
	s_cbranch_vccnz .LBB31_16
.LBB31_15:
	v_mad_u64_u32 v[3:4], null, v0, s3, v[2:3]
	v_mov_b32_e32 v4, 0
	v_lshlrev_b64 v[5:6], 3, v[3:4]
	v_add_co_u32 v5, vcc_lo, s0, v5
	v_add_co_ci_u32_e64 v6, null, s1, v6, vcc_lo
	global_load_dword v3, v[5:6], off
	s_waitcnt vmcnt(0)
	v_mad_u64_u32 v[0:1], null, v0, s9, v[2:3]
	v_mov_b32_e32 v1, v4
	v_lshlrev_b64 v[0:1], 2, v[0:1]
	v_add_co_u32 v0, vcc_lo, s2, v0
	v_add_co_ci_u32_e64 v1, null, s4, v1, vcc_lo
	global_store_dword v[0:1], v3, off
.LBB31_16:
	s_endpgm
.LBB31_17:
	s_branch .LBB31_15
	.section	.rodata,"a",@progbits
	.p2align	6, 0x0
	.amdhsa_kernel _ZN9rocsolver6v33100L8copy_matI19rocblas_complex_numIfEfLb1EPS3_TnNSt9enable_ifIX18rocblas_is_complexIT_EEiE4typeELi0EEEvNS0_17copymat_directionEiiT2_iilPT0_13rocblas_fill_17rocblas_diagonal_
		.amdhsa_group_segment_fixed_size 0
		.amdhsa_private_segment_fixed_size 0
		.amdhsa_kernarg_size 312
		.amdhsa_user_sgpr_count 6
		.amdhsa_user_sgpr_private_segment_buffer 1
		.amdhsa_user_sgpr_dispatch_ptr 0
		.amdhsa_user_sgpr_queue_ptr 0
		.amdhsa_user_sgpr_kernarg_segment_ptr 1
		.amdhsa_user_sgpr_dispatch_id 0
		.amdhsa_user_sgpr_flat_scratch_init 0
		.amdhsa_user_sgpr_private_segment_size 0
		.amdhsa_wavefront_size32 1
		.amdhsa_uses_dynamic_stack 0
		.amdhsa_system_sgpr_private_segment_wavefront_offset 0
		.amdhsa_system_sgpr_workgroup_id_x 1
		.amdhsa_system_sgpr_workgroup_id_y 1
		.amdhsa_system_sgpr_workgroup_id_z 1
		.amdhsa_system_sgpr_workgroup_info 0
		.amdhsa_system_vgpr_workitem_id 1
		.amdhsa_next_free_vgpr 7
		.amdhsa_next_free_sgpr 18
		.amdhsa_reserve_vcc 1
		.amdhsa_reserve_flat_scratch 0
		.amdhsa_float_round_mode_32 0
		.amdhsa_float_round_mode_16_64 0
		.amdhsa_float_denorm_mode_32 3
		.amdhsa_float_denorm_mode_16_64 3
		.amdhsa_dx10_clamp 1
		.amdhsa_ieee_mode 1
		.amdhsa_fp16_overflow 0
		.amdhsa_workgroup_processor_mode 1
		.amdhsa_memory_ordered 1
		.amdhsa_forward_progress 1
		.amdhsa_shared_vgpr_count 0
		.amdhsa_exception_fp_ieee_invalid_op 0
		.amdhsa_exception_fp_denorm_src 0
		.amdhsa_exception_fp_ieee_div_zero 0
		.amdhsa_exception_fp_ieee_overflow 0
		.amdhsa_exception_fp_ieee_underflow 0
		.amdhsa_exception_fp_ieee_inexact 0
		.amdhsa_exception_int_div_zero 0
	.end_amdhsa_kernel
	.section	.text._ZN9rocsolver6v33100L8copy_matI19rocblas_complex_numIfEfLb1EPS3_TnNSt9enable_ifIX18rocblas_is_complexIT_EEiE4typeELi0EEEvNS0_17copymat_directionEiiT2_iilPT0_13rocblas_fill_17rocblas_diagonal_,"axG",@progbits,_ZN9rocsolver6v33100L8copy_matI19rocblas_complex_numIfEfLb1EPS3_TnNSt9enable_ifIX18rocblas_is_complexIT_EEiE4typeELi0EEEvNS0_17copymat_directionEiiT2_iilPT0_13rocblas_fill_17rocblas_diagonal_,comdat
.Lfunc_end31:
	.size	_ZN9rocsolver6v33100L8copy_matI19rocblas_complex_numIfEfLb1EPS3_TnNSt9enable_ifIX18rocblas_is_complexIT_EEiE4typeELi0EEEvNS0_17copymat_directionEiiT2_iilPT0_13rocblas_fill_17rocblas_diagonal_, .Lfunc_end31-_ZN9rocsolver6v33100L8copy_matI19rocblas_complex_numIfEfLb1EPS3_TnNSt9enable_ifIX18rocblas_is_complexIT_EEiE4typeELi0EEEvNS0_17copymat_directionEiiT2_iilPT0_13rocblas_fill_17rocblas_diagonal_
                                        ; -- End function
	.set _ZN9rocsolver6v33100L8copy_matI19rocblas_complex_numIfEfLb1EPS3_TnNSt9enable_ifIX18rocblas_is_complexIT_EEiE4typeELi0EEEvNS0_17copymat_directionEiiT2_iilPT0_13rocblas_fill_17rocblas_diagonal_.num_vgpr, 7
	.set _ZN9rocsolver6v33100L8copy_matI19rocblas_complex_numIfEfLb1EPS3_TnNSt9enable_ifIX18rocblas_is_complexIT_EEiE4typeELi0EEEvNS0_17copymat_directionEiiT2_iilPT0_13rocblas_fill_17rocblas_diagonal_.num_agpr, 0
	.set _ZN9rocsolver6v33100L8copy_matI19rocblas_complex_numIfEfLb1EPS3_TnNSt9enable_ifIX18rocblas_is_complexIT_EEiE4typeELi0EEEvNS0_17copymat_directionEiiT2_iilPT0_13rocblas_fill_17rocblas_diagonal_.numbered_sgpr, 18
	.set _ZN9rocsolver6v33100L8copy_matI19rocblas_complex_numIfEfLb1EPS3_TnNSt9enable_ifIX18rocblas_is_complexIT_EEiE4typeELi0EEEvNS0_17copymat_directionEiiT2_iilPT0_13rocblas_fill_17rocblas_diagonal_.num_named_barrier, 0
	.set _ZN9rocsolver6v33100L8copy_matI19rocblas_complex_numIfEfLb1EPS3_TnNSt9enable_ifIX18rocblas_is_complexIT_EEiE4typeELi0EEEvNS0_17copymat_directionEiiT2_iilPT0_13rocblas_fill_17rocblas_diagonal_.private_seg_size, 0
	.set _ZN9rocsolver6v33100L8copy_matI19rocblas_complex_numIfEfLb1EPS3_TnNSt9enable_ifIX18rocblas_is_complexIT_EEiE4typeELi0EEEvNS0_17copymat_directionEiiT2_iilPT0_13rocblas_fill_17rocblas_diagonal_.uses_vcc, 1
	.set _ZN9rocsolver6v33100L8copy_matI19rocblas_complex_numIfEfLb1EPS3_TnNSt9enable_ifIX18rocblas_is_complexIT_EEiE4typeELi0EEEvNS0_17copymat_directionEiiT2_iilPT0_13rocblas_fill_17rocblas_diagonal_.uses_flat_scratch, 0
	.set _ZN9rocsolver6v33100L8copy_matI19rocblas_complex_numIfEfLb1EPS3_TnNSt9enable_ifIX18rocblas_is_complexIT_EEiE4typeELi0EEEvNS0_17copymat_directionEiiT2_iilPT0_13rocblas_fill_17rocblas_diagonal_.has_dyn_sized_stack, 0
	.set _ZN9rocsolver6v33100L8copy_matI19rocblas_complex_numIfEfLb1EPS3_TnNSt9enable_ifIX18rocblas_is_complexIT_EEiE4typeELi0EEEvNS0_17copymat_directionEiiT2_iilPT0_13rocblas_fill_17rocblas_diagonal_.has_recursion, 0
	.set _ZN9rocsolver6v33100L8copy_matI19rocblas_complex_numIfEfLb1EPS3_TnNSt9enable_ifIX18rocblas_is_complexIT_EEiE4typeELi0EEEvNS0_17copymat_directionEiiT2_iilPT0_13rocblas_fill_17rocblas_diagonal_.has_indirect_call, 0
	.section	.AMDGPU.csdata,"",@progbits
; Kernel info:
; codeLenInByte = 608
; TotalNumSgprs: 20
; NumVgprs: 7
; ScratchSize: 0
; MemoryBound: 0
; FloatMode: 240
; IeeeMode: 1
; LDSByteSize: 0 bytes/workgroup (compile time only)
; SGPRBlocks: 0
; VGPRBlocks: 0
; NumSGPRsForWavesPerEU: 20
; NumVGPRsForWavesPerEU: 7
; Occupancy: 16
; WaveLimiterHint : 0
; COMPUTE_PGM_RSRC2:SCRATCH_EN: 0
; COMPUTE_PGM_RSRC2:USER_SGPR: 6
; COMPUTE_PGM_RSRC2:TRAP_HANDLER: 0
; COMPUTE_PGM_RSRC2:TGID_X_EN: 1
; COMPUTE_PGM_RSRC2:TGID_Y_EN: 1
; COMPUTE_PGM_RSRC2:TGID_Z_EN: 1
; COMPUTE_PGM_RSRC2:TIDIG_COMP_CNT: 1
	.section	.text._ZN9rocsolver6v33100L8copy_matI19rocblas_complex_numIfEfLb0EPS3_TnNSt9enable_ifIX18rocblas_is_complexIT_EEiE4typeELi0EEEvNS0_17copymat_directionEiiT2_iilPT0_13rocblas_fill_17rocblas_diagonal_,"axG",@progbits,_ZN9rocsolver6v33100L8copy_matI19rocblas_complex_numIfEfLb0EPS3_TnNSt9enable_ifIX18rocblas_is_complexIT_EEiE4typeELi0EEEvNS0_17copymat_directionEiiT2_iilPT0_13rocblas_fill_17rocblas_diagonal_,comdat
	.globl	_ZN9rocsolver6v33100L8copy_matI19rocblas_complex_numIfEfLb0EPS3_TnNSt9enable_ifIX18rocblas_is_complexIT_EEiE4typeELi0EEEvNS0_17copymat_directionEiiT2_iilPT0_13rocblas_fill_17rocblas_diagonal_ ; -- Begin function _ZN9rocsolver6v33100L8copy_matI19rocblas_complex_numIfEfLb0EPS3_TnNSt9enable_ifIX18rocblas_is_complexIT_EEiE4typeELi0EEEvNS0_17copymat_directionEiiT2_iilPT0_13rocblas_fill_17rocblas_diagonal_
	.p2align	8
	.type	_ZN9rocsolver6v33100L8copy_matI19rocblas_complex_numIfEfLb0EPS3_TnNSt9enable_ifIX18rocblas_is_complexIT_EEiE4typeELi0EEEvNS0_17copymat_directionEiiT2_iilPT0_13rocblas_fill_17rocblas_diagonal_,@function
_ZN9rocsolver6v33100L8copy_matI19rocblas_complex_numIfEfLb0EPS3_TnNSt9enable_ifIX18rocblas_is_complexIT_EEiE4typeELi0EEEvNS0_17copymat_directionEiiT2_iilPT0_13rocblas_fill_17rocblas_diagonal_: ; @_ZN9rocsolver6v33100L8copy_matI19rocblas_complex_numIfEfLb0EPS3_TnNSt9enable_ifIX18rocblas_is_complexIT_EEiE4typeELi0EEEvNS0_17copymat_directionEiiT2_iilPT0_13rocblas_fill_17rocblas_diagonal_
; %bb.0:
	s_clause 0x1
	s_load_dword s0, s[4:5], 0x44
	s_load_dwordx4 s[12:15], s[4:5], 0x0
	s_waitcnt lgkmcnt(0)
	s_lshr_b32 s1, s0, 16
	s_and_b32 s0, s0, 0xffff
	v_mad_u64_u32 v[2:3], null, s6, s0, v[0:1]
	v_mad_u64_u32 v[0:1], null, s7, s1, v[1:2]
	v_cmp_gt_u32_e32 vcc_lo, s13, v2
	v_cmp_gt_u32_e64 s0, s14, v0
	s_and_b32 s0, s0, vcc_lo
	s_and_saveexec_b32 s1, s0
	s_cbranch_execz .LBB32_16
; %bb.1:
	s_load_dwordx2 s[2:3], s[4:5], 0x30
	s_mov_b32 s9, s13
	s_waitcnt lgkmcnt(0)
	s_cmpk_lt_i32 s2, 0x7a
	s_cbranch_scc1 .LBB32_4
; %bb.2:
	s_cmpk_gt_i32 s2, 0x7a
	s_cbranch_scc0 .LBB32_5
; %bb.3:
	s_cmpk_lg_i32 s2, 0x7b
	s_mov_b32 s1, -1
	s_cselect_b32 s6, -1, 0
	s_cbranch_execz .LBB32_6
	s_branch .LBB32_7
.LBB32_4:
	s_mov_b32 s6, 0
	s_mov_b32 s1, 0
	s_cbranch_execnz .LBB32_8
	s_branch .LBB32_10
.LBB32_5:
	s_mov_b32 s1, 0
	s_mov_b32 s6, 0
.LBB32_6:
	v_cmp_gt_u32_e32 vcc_lo, v2, v0
	v_cmp_le_u32_e64 s0, v2, v0
	s_andn2_b32 s1, s1, exec_lo
	s_andn2_b32 s6, s6, exec_lo
	s_and_b32 s7, vcc_lo, exec_lo
	s_and_b32 s0, s0, exec_lo
	s_or_b32 s1, s1, s7
	s_or_b32 s6, s6, s0
.LBB32_7:
	s_branch .LBB32_10
.LBB32_8:
	s_cmpk_eq_i32 s2, 0x79
	s_mov_b32 s6, -1
	s_cbranch_scc0 .LBB32_10
; %bb.9:
	v_cmp_gt_u32_e32 vcc_lo, v0, v2
	v_cmp_le_u32_e64 s0, v0, v2
	s_andn2_b32 s1, s1, exec_lo
	s_and_b32 s2, vcc_lo, exec_lo
	s_orn2_b32 s6, s0, exec_lo
	s_or_b32 s1, s1, s2
.LBB32_10:
	s_and_saveexec_b32 s0, s6
; %bb.11:
	v_cmp_eq_u32_e32 vcc_lo, v2, v0
	s_cmpk_eq_i32 s3, 0x83
	s_cselect_b32 s2, -1, 0
	s_andn2_b32 s1, s1, exec_lo
	s_and_b32 s2, s2, vcc_lo
	s_and_b32 s2, s2, exec_lo
	s_or_b32 s1, s1, s2
; %bb.12:
	s_or_b32 exec_lo, exec_lo, s0
	s_and_b32 exec_lo, exec_lo, s1
	s_cbranch_execz .LBB32_16
; %bb.13:
	s_load_dwordx8 s[0:7], s[4:5], 0x10
	s_ashr_i32 s10, s13, 31
	s_ashr_i32 s11, s14, 31
	s_mul_hi_u32 s15, s13, s8
	s_mul_i32 s13, s13, s8
	s_mul_i32 s18, s10, s8
	;; [unrolled: 1-line block ×3, first 2 shown]
	s_mul_hi_u32 s19, s13, s14
	s_mul_i32 s10, s13, s14
	s_waitcnt lgkmcnt(0)
	s_mul_i32 s5, s5, s8
	s_mul_hi_u32 s13, s4, s8
	v_mad_u64_u32 v[4:5], null, v0, s3, v[2:3]
	s_mul_i32 s4, s4, s8
	s_add_i32 s5, s13, s5
	v_mov_b32_e32 v5, 0
	s_lshl_b64 s[4:5], s[4:5], 3
	s_ashr_i32 s17, s2, 31
	s_mov_b32 s16, s2
	s_add_u32 s2, s0, s4
	s_addc_u32 s3, s1, s5
	s_lshl_b64 s[0:1], s[16:17], 3
	v_lshlrev_b64 v[3:4], 3, v[4:5]
	s_add_u32 s2, s2, s0
	s_addc_u32 s3, s3, s1
	s_add_i32 s0, s15, s18
	s_add_i32 s1, s19, s11
	s_mul_i32 s0, s0, s14
	v_add_co_u32 v3, vcc_lo, s2, v3
	s_add_i32 s11, s1, s0
	v_add_co_ci_u32_e64 v4, null, s3, v4, vcc_lo
	s_lshl_b64 s[0:1], s[10:11], 2
	s_mov_b32 s2, 0
	s_add_u32 s0, s6, s0
	s_addc_u32 s1, s7, s1
	s_cmp_lg_u32 s12, 0
	s_cbranch_scc0 .LBB32_17
; %bb.14:
	v_mad_u64_u32 v[6:7], null, v0, s9, v[2:3]
	v_mov_b32_e32 v7, v5
	v_lshlrev_b64 v[5:6], 2, v[6:7]
	v_add_co_u32 v5, vcc_lo, s0, v5
	v_add_co_ci_u32_e64 v6, null, s1, v6, vcc_lo
	global_load_dword v1, v[5:6], off
	s_waitcnt vmcnt(0)
	global_store_dword v[3:4], v1, off offset:4
	s_andn2_b32 vcc_lo, exec_lo, s2
	s_cbranch_vccnz .LBB32_16
.LBB32_15:
	global_load_dword v3, v[3:4], off offset:4
	s_waitcnt vmcnt(0)
	v_mad_u64_u32 v[0:1], null, v0, s9, v[2:3]
	v_mov_b32_e32 v1, 0
	v_lshlrev_b64 v[0:1], 2, v[0:1]
	v_add_co_u32 v0, vcc_lo, s0, v0
	v_add_co_ci_u32_e64 v1, null, s1, v1, vcc_lo
	global_store_dword v[0:1], v3, off
.LBB32_16:
	s_endpgm
.LBB32_17:
	s_branch .LBB32_15
	.section	.rodata,"a",@progbits
	.p2align	6, 0x0
	.amdhsa_kernel _ZN9rocsolver6v33100L8copy_matI19rocblas_complex_numIfEfLb0EPS3_TnNSt9enable_ifIX18rocblas_is_complexIT_EEiE4typeELi0EEEvNS0_17copymat_directionEiiT2_iilPT0_13rocblas_fill_17rocblas_diagonal_
		.amdhsa_group_segment_fixed_size 0
		.amdhsa_private_segment_fixed_size 0
		.amdhsa_kernarg_size 312
		.amdhsa_user_sgpr_count 6
		.amdhsa_user_sgpr_private_segment_buffer 1
		.amdhsa_user_sgpr_dispatch_ptr 0
		.amdhsa_user_sgpr_queue_ptr 0
		.amdhsa_user_sgpr_kernarg_segment_ptr 1
		.amdhsa_user_sgpr_dispatch_id 0
		.amdhsa_user_sgpr_flat_scratch_init 0
		.amdhsa_user_sgpr_private_segment_size 0
		.amdhsa_wavefront_size32 1
		.amdhsa_uses_dynamic_stack 0
		.amdhsa_system_sgpr_private_segment_wavefront_offset 0
		.amdhsa_system_sgpr_workgroup_id_x 1
		.amdhsa_system_sgpr_workgroup_id_y 1
		.amdhsa_system_sgpr_workgroup_id_z 1
		.amdhsa_system_sgpr_workgroup_info 0
		.amdhsa_system_vgpr_workitem_id 1
		.amdhsa_next_free_vgpr 8
		.amdhsa_next_free_sgpr 20
		.amdhsa_reserve_vcc 1
		.amdhsa_reserve_flat_scratch 0
		.amdhsa_float_round_mode_32 0
		.amdhsa_float_round_mode_16_64 0
		.amdhsa_float_denorm_mode_32 3
		.amdhsa_float_denorm_mode_16_64 3
		.amdhsa_dx10_clamp 1
		.amdhsa_ieee_mode 1
		.amdhsa_fp16_overflow 0
		.amdhsa_workgroup_processor_mode 1
		.amdhsa_memory_ordered 1
		.amdhsa_forward_progress 1
		.amdhsa_shared_vgpr_count 0
		.amdhsa_exception_fp_ieee_invalid_op 0
		.amdhsa_exception_fp_denorm_src 0
		.amdhsa_exception_fp_ieee_div_zero 0
		.amdhsa_exception_fp_ieee_overflow 0
		.amdhsa_exception_fp_ieee_underflow 0
		.amdhsa_exception_fp_ieee_inexact 0
		.amdhsa_exception_int_div_zero 0
	.end_amdhsa_kernel
	.section	.text._ZN9rocsolver6v33100L8copy_matI19rocblas_complex_numIfEfLb0EPS3_TnNSt9enable_ifIX18rocblas_is_complexIT_EEiE4typeELi0EEEvNS0_17copymat_directionEiiT2_iilPT0_13rocblas_fill_17rocblas_diagonal_,"axG",@progbits,_ZN9rocsolver6v33100L8copy_matI19rocblas_complex_numIfEfLb0EPS3_TnNSt9enable_ifIX18rocblas_is_complexIT_EEiE4typeELi0EEEvNS0_17copymat_directionEiiT2_iilPT0_13rocblas_fill_17rocblas_diagonal_,comdat
.Lfunc_end32:
	.size	_ZN9rocsolver6v33100L8copy_matI19rocblas_complex_numIfEfLb0EPS3_TnNSt9enable_ifIX18rocblas_is_complexIT_EEiE4typeELi0EEEvNS0_17copymat_directionEiiT2_iilPT0_13rocblas_fill_17rocblas_diagonal_, .Lfunc_end32-_ZN9rocsolver6v33100L8copy_matI19rocblas_complex_numIfEfLb0EPS3_TnNSt9enable_ifIX18rocblas_is_complexIT_EEiE4typeELi0EEEvNS0_17copymat_directionEiiT2_iilPT0_13rocblas_fill_17rocblas_diagonal_
                                        ; -- End function
	.set _ZN9rocsolver6v33100L8copy_matI19rocblas_complex_numIfEfLb0EPS3_TnNSt9enable_ifIX18rocblas_is_complexIT_EEiE4typeELi0EEEvNS0_17copymat_directionEiiT2_iilPT0_13rocblas_fill_17rocblas_diagonal_.num_vgpr, 8
	.set _ZN9rocsolver6v33100L8copy_matI19rocblas_complex_numIfEfLb0EPS3_TnNSt9enable_ifIX18rocblas_is_complexIT_EEiE4typeELi0EEEvNS0_17copymat_directionEiiT2_iilPT0_13rocblas_fill_17rocblas_diagonal_.num_agpr, 0
	.set _ZN9rocsolver6v33100L8copy_matI19rocblas_complex_numIfEfLb0EPS3_TnNSt9enable_ifIX18rocblas_is_complexIT_EEiE4typeELi0EEEvNS0_17copymat_directionEiiT2_iilPT0_13rocblas_fill_17rocblas_diagonal_.numbered_sgpr, 20
	.set _ZN9rocsolver6v33100L8copy_matI19rocblas_complex_numIfEfLb0EPS3_TnNSt9enable_ifIX18rocblas_is_complexIT_EEiE4typeELi0EEEvNS0_17copymat_directionEiiT2_iilPT0_13rocblas_fill_17rocblas_diagonal_.num_named_barrier, 0
	.set _ZN9rocsolver6v33100L8copy_matI19rocblas_complex_numIfEfLb0EPS3_TnNSt9enable_ifIX18rocblas_is_complexIT_EEiE4typeELi0EEEvNS0_17copymat_directionEiiT2_iilPT0_13rocblas_fill_17rocblas_diagonal_.private_seg_size, 0
	.set _ZN9rocsolver6v33100L8copy_matI19rocblas_complex_numIfEfLb0EPS3_TnNSt9enable_ifIX18rocblas_is_complexIT_EEiE4typeELi0EEEvNS0_17copymat_directionEiiT2_iilPT0_13rocblas_fill_17rocblas_diagonal_.uses_vcc, 1
	.set _ZN9rocsolver6v33100L8copy_matI19rocblas_complex_numIfEfLb0EPS3_TnNSt9enable_ifIX18rocblas_is_complexIT_EEiE4typeELi0EEEvNS0_17copymat_directionEiiT2_iilPT0_13rocblas_fill_17rocblas_diagonal_.uses_flat_scratch, 0
	.set _ZN9rocsolver6v33100L8copy_matI19rocblas_complex_numIfEfLb0EPS3_TnNSt9enable_ifIX18rocblas_is_complexIT_EEiE4typeELi0EEEvNS0_17copymat_directionEiiT2_iilPT0_13rocblas_fill_17rocblas_diagonal_.has_dyn_sized_stack, 0
	.set _ZN9rocsolver6v33100L8copy_matI19rocblas_complex_numIfEfLb0EPS3_TnNSt9enable_ifIX18rocblas_is_complexIT_EEiE4typeELi0EEEvNS0_17copymat_directionEiiT2_iilPT0_13rocblas_fill_17rocblas_diagonal_.has_recursion, 0
	.set _ZN9rocsolver6v33100L8copy_matI19rocblas_complex_numIfEfLb0EPS3_TnNSt9enable_ifIX18rocblas_is_complexIT_EEiE4typeELi0EEEvNS0_17copymat_directionEiiT2_iilPT0_13rocblas_fill_17rocblas_diagonal_.has_indirect_call, 0
	.section	.AMDGPU.csdata,"",@progbits
; Kernel info:
; codeLenInByte = 572
; TotalNumSgprs: 22
; NumVgprs: 8
; ScratchSize: 0
; MemoryBound: 0
; FloatMode: 240
; IeeeMode: 1
; LDSByteSize: 0 bytes/workgroup (compile time only)
; SGPRBlocks: 0
; VGPRBlocks: 0
; NumSGPRsForWavesPerEU: 22
; NumVGPRsForWavesPerEU: 8
; Occupancy: 16
; WaveLimiterHint : 0
; COMPUTE_PGM_RSRC2:SCRATCH_EN: 0
; COMPUTE_PGM_RSRC2:USER_SGPR: 6
; COMPUTE_PGM_RSRC2:TRAP_HANDLER: 0
; COMPUTE_PGM_RSRC2:TGID_X_EN: 1
; COMPUTE_PGM_RSRC2:TGID_Y_EN: 1
; COMPUTE_PGM_RSRC2:TGID_Z_EN: 1
; COMPUTE_PGM_RSRC2:TIDIG_COMP_CNT: 1
	.section	.text._ZN9rocsolver6v33100L11stedcx_sortI19rocblas_complex_numIfEfPS3_EEviPT0_lT1_iiliPiS8_,"axG",@progbits,_ZN9rocsolver6v33100L11stedcx_sortI19rocblas_complex_numIfEfPS3_EEviPT0_lT1_iiliPiS8_,comdat
	.globl	_ZN9rocsolver6v33100L11stedcx_sortI19rocblas_complex_numIfEfPS3_EEviPT0_lT1_iiliPiS8_ ; -- Begin function _ZN9rocsolver6v33100L11stedcx_sortI19rocblas_complex_numIfEfPS3_EEviPT0_lT1_iiliPiS8_
	.p2align	8
	.type	_ZN9rocsolver6v33100L11stedcx_sortI19rocblas_complex_numIfEfPS3_EEviPT0_lT1_iiliPiS8_,@function
_ZN9rocsolver6v33100L11stedcx_sortI19rocblas_complex_numIfEfPS3_EEviPT0_lT1_iiliPiS8_: ; @_ZN9rocsolver6v33100L11stedcx_sortI19rocblas_complex_numIfEfPS3_EEviPT0_lT1_iiliPiS8_
; %bb.0:
	s_add_u32 s6, s6, s10
	s_mov_b32 s32, 0
	s_addc_u32 s7, s7, 0
	s_setreg_b32 hwreg(HW_REG_FLAT_SCR_LO), s6
	s_setreg_b32 hwreg(HW_REG_FLAT_SCR_HI), s7
	s_load_dword s33, s[4:5], 0x30
	s_add_u32 s0, s0, s10
	s_addc_u32 s1, s1, 0
	s_waitcnt lgkmcnt(0)
	s_cmp_ge_i32 s9, s33
	s_cbranch_scc1 .LBB33_70
; %bb.1:
	s_mov_b32 s20, s9
	s_clause 0x3
	s_load_dword s34, s[4:5], 0x0
	s_load_dwordx4 s[8:11], s[4:5], 0x38
	s_load_dwordx8 s[12:19], s[4:5], 0x8
	s_load_dwordx2 s[22:23], s[4:5], 0x28
	s_add_u32 s24, s4, 0x48
	s_addc_u32 s25, s5, 0
	s_load_dword s35, s[4:5], 0x50
	v_or3_b32 v3, v1, v2, v0
	v_mov_b32_e32 v4, 0
	s_mov_b32 s27, 0
	s_mov_b32 s47, 0
                                        ; implicit-def: $sgpr48
                                        ; implicit-def: $sgpr44
                                        ; implicit-def: $sgpr49
                                        ; implicit-def: $sgpr50
	s_waitcnt lgkmcnt(0)
	s_mul_hi_i32 s7, s34, s20
	s_mul_i32 s6, s34, s20
	s_mov_b32 s45, s19
	s_lshl_b64 s[6:7], s[6:7], 2
	s_add_u32 s36, s8, s6
	s_addc_u32 s37, s9, s7
	s_cmp_lg_u64 s[16:17], 0
	s_mov_b32 s6, s18
	s_cselect_b32 s38, -1, 0
	s_ashr_i32 s7, s18, 31
	s_lshl_b64 s[6:7], s[6:7], 3
	s_add_u32 s39, s16, s6
	s_addc_u32 s40, s17, s7
	s_cmp_lg_u64 s[10:11], 0
	v_cmp_eq_u32_e64 s6, 0, v3
	s_cselect_b32 s41, -1, 0
	s_cmp_eq_u64 s[12:13], 0
	s_cselect_b32 s42, -1, 0
	s_cmp_lg_u64 s[8:9], 0
	s_cselect_b32 s43, -1, 0
	s_min_i32 s7, s34, s19
	s_cmp_gt_i32 s7, 0
	s_cselect_b32 s7, -1, 0
	s_and_b32 s46, s7, s43
	s_branch .LBB33_4
.LBB33_2:                               ;   in Loop: Header=BB33_4 Depth=1
	s_or_b32 exec_lo, exec_lo, s8
	s_andn2_b32 s7, s50, exec_lo
	s_and_b32 s8, s16, exec_lo
	s_andn2_b32 s49, s49, exec_lo
	s_or_b32 s50, s7, s8
	s_orn2_b32 s52, s21, exec_lo
.LBB33_3:                               ;   in Loop: Header=BB33_4 Depth=1
	s_or_b32 exec_lo, exec_lo, s9
	s_and_b32 s7, exec_lo, s52
	s_or_b32 s47, s7, s47
	s_andn2_b32 s7, s44, exec_lo
	s_and_b32 s8, s50, exec_lo
	s_andn2_b32 s9, s48, exec_lo
	s_and_b32 s16, s49, exec_lo
	s_or_b32 s44, s7, s8
	s_or_b32 s48, s9, s16
	s_andn2_b32 exec_lo, exec_lo, s47
	s_cbranch_execz .LBB33_66
.LBB33_4:                               ; =>This Loop Header: Depth=1
                                        ;     Child Loop BB33_11 Depth 2
                                        ;     Child Loop BB33_15 Depth 2
                                        ;       Child Loop BB33_18 Depth 3
                                        ;         Child Loop BB33_22 Depth 4
                                        ;     Child Loop BB33_33 Depth 2
                                        ;     Child Loop BB33_47 Depth 2
                                        ;       Child Loop BB33_49 Depth 3
                                        ;         Child Loop BB33_54 Depth 4
                                        ;     Child Loop BB33_58 Depth 2
	s_ashr_i32 s21, s20, 31
	s_andn2_b32 vcc_lo, exec_lo, s38
	s_mov_b64 s[16:17], 0
	s_cbranch_vccnz .LBB33_6
; %bb.5:                                ;   in Loop: Header=BB33_4 Depth=1
	s_mul_i32 s7, s22, s21
	s_mul_hi_u32 s8, s22, s20
	s_mul_i32 s9, s23, s20
	s_add_i32 s7, s8, s7
	s_mul_i32 s8, s22, s20
	s_add_i32 s9, s7, s9
	s_lshl_b64 s[8:9], s[8:9], 3
	s_add_u32 s16, s39, s8
	s_addc_u32 s17, s40, s9
.LBB33_6:                               ;   in Loop: Header=BB33_4 Depth=1
	s_andn2_b32 vcc_lo, exec_lo, s41
	s_mov_b32 s51, s34
	s_cbranch_vccnz .LBB33_8
; %bb.7:                                ;   in Loop: Header=BB33_4 Depth=1
	s_lshl_b64 s[8:9], s[20:21], 2
	s_add_u32 s8, s10, s8
	s_addc_u32 s9, s11, s9
	global_load_dword v3, v4, s[8:9]
	s_waitcnt vmcnt(0)
	v_readfirstlane_b32 s51, v3
.LBB33_8:                               ;   in Loop: Header=BB33_4 Depth=1
	s_cmp_lt_i32 s51, 1
	s_mov_b32 s52, -1
	s_cselect_b32 s7, -1, 0
	s_or_b32 s7, s42, s7
	s_barrier
	s_and_b32 vcc_lo, exec_lo, s7
	s_mov_b32 s7, -1
	buffer_gl0_inv
	s_cbranch_vccnz .LBB33_42
; %bb.9:                                ;   in Loop: Header=BB33_4 Depth=1
	s_load_dwordx2 s[8:9], s[24:25], 0xc
	s_waitcnt lgkmcnt(0)
	s_barrier
	buffer_gl0_inv
	s_lshr_b32 s7, s8, 16
	s_and_b32 s8, s8, 0xffff
	s_mul_i32 s53, s7, s8
	v_mul_u32_u24_e32 v5, s8, v1
	v_mul_lo_u32 v3, s53, v2
	s_and_b32 s7, s9, 0xffff
	s_mul_i32 s53, s53, s7
	v_add3_u32 v5, v5, v0, v3
	v_cmp_gt_u32_e32 vcc_lo, s51, v5
	s_and_b32 s8, s43, vcc_lo
	s_and_saveexec_b32 s7, s8
	s_cbranch_execz .LBB33_12
; %bb.10:                               ;   in Loop: Header=BB33_4 Depth=1
	v_mov_b32_e32 v3, v5
	s_mov_b32 s8, 0
.LBB33_11:                              ;   Parent Loop BB33_4 Depth=1
                                        ; =>  This Inner Loop Header: Depth=2
	v_lshlrev_b64 v[6:7], 2, v[3:4]
	v_add_co_u32 v6, vcc_lo, s36, v6
	v_add_co_ci_u32_e64 v7, null, s37, v7, vcc_lo
	global_store_dword v[6:7], v3, off
	v_add_nc_u32_e32 v3, s53, v3
	v_cmp_le_u32_e32 vcc_lo, s51, v3
	s_or_b32 s8, vcc_lo, s8
	s_andn2_b32 exec_lo, exec_lo, s8
	s_cbranch_execnz .LBB33_11
.LBB33_12:                              ;   in Loop: Header=BB33_4 Depth=1
	s_or_b32 exec_lo, exec_lo, s7
	s_mul_i32 s7, s14, s21
	s_mul_hi_u32 s8, s14, s20
	s_mul_i32 s9, s15, s20
	s_add_i32 s7, s8, s7
	s_mul_i32 s8, s14, s20
	s_add_i32 s9, s7, s9
	s_waitcnt_vscnt null, 0x0
	s_lshl_b64 s[8:9], s[8:9], 2
	s_barrier
	s_add_u32 s21, s12, s8
	s_addc_u32 s54, s13, s9
	buffer_gl0_inv
	s_and_saveexec_b32 s7, s6
	s_cbranch_execz .LBB33_29
; %bb.13:                               ;   in Loop: Header=BB33_4 Depth=1
	s_mov_b32 s8, 0
	s_branch .LBB33_15
.LBB33_14:                              ;   in Loop: Header=BB33_15 Depth=2
	s_add_i32 s8, s8, 1
	s_cmp_eq_u32 s8, 8
	s_cbranch_scc1 .LBB33_29
.LBB33_15:                              ;   Parent Loop BB33_4 Depth=1
                                        ; =>  This Loop Header: Depth=2
                                        ;       Child Loop BB33_18 Depth 3
                                        ;         Child Loop BB33_22 Depth 4
	s_mov_b32 s9, s27
	s_getpc_b64 s[18:19]
	s_add_u32 s18, s18, __const._ZN9rocsolver6v33100L20shell_sort_ascendingIfiEEvT0_PT_PS2_.gaps@rel32@lo+4
	s_addc_u32 s19, s19, __const._ZN9rocsolver6v33100L20shell_sort_ascendingIfiEEvT0_PT_PS2_.gaps@rel32@hi+12
	s_lshl_b64 s[28:29], s[8:9], 2
	s_add_u32 s18, s18, s28
	s_addc_u32 s19, s19, s29
	s_load_dword s9, s[18:19], 0x0
	s_waitcnt lgkmcnt(0)
	s_cmp_ge_i32 s9, s51
	s_cbranch_scc1 .LBB33_14
; %bb.16:                               ;   in Loop: Header=BB33_15 Depth=2
	s_mov_b32 s55, 0
	s_mov_b32 s18, s9
	s_branch .LBB33_18
.LBB33_17:                              ;   in Loop: Header=BB33_18 Depth=3
	s_add_i32 s18, s18, 1
	s_add_i32 s55, s55, 1
	s_cmp_ge_i32 s18, s51
	s_cbranch_scc1 .LBB33_14
.LBB33_18:                              ;   Parent Loop BB33_4 Depth=1
                                        ;     Parent Loop BB33_15 Depth=2
                                        ; =>    This Loop Header: Depth=3
                                        ;         Child Loop BB33_22 Depth 4
	s_ashr_i32 s19, s18, 31
	s_lshl_b64 s[28:29], s[18:19], 2
	s_add_u32 s30, s21, s28
	s_addc_u32 s31, s54, s29
	s_andn2_b32 vcc_lo, exec_lo, s43
	global_load_dword v3, v4, s[30:31]
	s_cbranch_vccnz .LBB33_20
; %bb.19:                               ;   in Loop: Header=BB33_18 Depth=3
	s_add_u32 s28, s36, s28
	s_addc_u32 s29, s37, s29
	global_load_dword v6, v4, s[28:29]
	s_cmp_lt_i32 s18, s9
	s_mov_b64 s[28:29], s[18:19]
	s_mov_b32 s26, s55
	s_cbranch_scc0 .LBB33_22
	s_branch .LBB33_27
.LBB33_20:                              ;   in Loop: Header=BB33_18 Depth=3
	v_mov_b32_e32 v6, 0
	s_cmp_lt_i32 s18, s9
	s_mov_b64 s[28:29], s[18:19]
	s_mov_b32 s26, s55
	s_cbranch_scc0 .LBB33_22
	s_branch .LBB33_27
	.p2align	6
.LBB33_21:                              ;   in Loop: Header=BB33_22 Depth=4
                                        ; implicit-def: $sgpr19
	s_and_b32 vcc_lo, exec_lo, s29
	s_mov_b32 s26, s19
	s_cbranch_vccnz .LBB33_26
.LBB33_22:                              ;   Parent Loop BB33_4 Depth=1
                                        ;     Parent Loop BB33_15 Depth=2
                                        ;       Parent Loop BB33_18 Depth=3
                                        ; =>      This Inner Loop Header: Depth=4
	s_lshl_b64 s[30:31], s[26:27], 2
	s_add_i32 s28, s9, s26
	s_add_u32 s56, s21, s30
	s_addc_u32 s57, s54, s31
	s_mov_b32 s29, -1
	global_load_dword v7, v4, s[56:57]
	s_waitcnt vmcnt(0)
	v_cmp_ngt_f32_e32 vcc_lo, v7, v3
	s_cbranch_vccnz .LBB33_21
; %bb.23:                               ;   in Loop: Header=BB33_22 Depth=4
	s_ashr_i32 s29, s28, 31
	s_lshl_b64 s[28:29], s[28:29], 2
	s_add_u32 s56, s21, s28
	s_addc_u32 s57, s54, s29
	s_andn2_b32 vcc_lo, exec_lo, s43
	global_store_dword v4, v7, s[56:57]
	s_cbranch_vccnz .LBB33_25
; %bb.24:                               ;   in Loop: Header=BB33_22 Depth=4
	s_add_u32 s28, s36, s28
	s_addc_u32 s29, s37, s29
	s_add_u32 s30, s36, s30
	s_addc_u32 s31, s37, s31
	global_load_dword v7, v4, s[30:31]
	s_waitcnt vmcnt(0)
	global_store_dword v4, v7, s[28:29]
.LBB33_25:                              ;   in Loop: Header=BB33_22 Depth=4
	s_sub_i32 s19, s26, s9
	s_cmp_lt_i32 s26, s9
	s_mov_b32 s28, s26
	s_cselect_b32 s29, -1, 0
	s_and_b32 vcc_lo, exec_lo, s29
	s_mov_b32 s26, s19
	s_cbranch_vccz .LBB33_22
.LBB33_26:                              ;   in Loop: Header=BB33_18 Depth=3
	s_ashr_i32 s29, s28, 31
.LBB33_27:                              ;   in Loop: Header=BB33_18 Depth=3
	s_lshl_b64 s[28:29], s[28:29], 2
	s_add_u32 s30, s21, s28
	s_addc_u32 s31, s54, s29
	s_andn2_b32 vcc_lo, exec_lo, s43
	s_waitcnt vmcnt(0)
	global_store_dword v4, v3, s[30:31]
	s_cbranch_vccnz .LBB33_17
; %bb.28:                               ;   in Loop: Header=BB33_18 Depth=3
	s_add_u32 s28, s36, s28
	s_addc_u32 s29, s37, s29
	global_store_dword v4, v6, s[28:29]
	s_branch .LBB33_17
.LBB33_29:                              ;   in Loop: Header=BB33_4 Depth=1
	s_or_b32 exec_lo, exec_lo, s7
	s_cmp_lt_u32 s51, 2
	s_waitcnt_vscnt null, 0x0
	s_cselect_b32 s18, -1, 0
	s_barrier
	s_and_b32 vcc_lo, exec_lo, s18
	buffer_gl0_inv
	s_cbranch_vccnz .LBB33_39
; %bb.30:                               ;   in Loop: Header=BB33_4 Depth=1
	s_add_i32 s9, s51, -1
	s_mov_b32 s18, -1
	s_mov_b32 s8, exec_lo
	v_cmpx_gt_u32_e64 s9, v5
	s_cbranch_execz .LBB33_38
; %bb.31:                               ;   in Loop: Header=BB33_4 Depth=1
	v_mov_b32_e32 v3, v5
	s_mov_b32 s18, 0
                                        ; implicit-def: $sgpr19
	s_inst_prefetch 0x1
	s_branch .LBB33_33
	.p2align	6
.LBB33_32:                              ;   in Loop: Header=BB33_33 Depth=2
	s_or_b32 exec_lo, exec_lo, s29
	s_xor_b32 s26, s28, -1
	s_and_b32 s7, exec_lo, s7
	s_or_b32 s18, s7, s18
	s_andn2_b32 s7, s19, exec_lo
	s_and_b32 s19, s26, exec_lo
	s_or_b32 s19, s7, s19
	s_andn2_b32 exec_lo, exec_lo, s18
	s_cbranch_execz .LBB33_37
.LBB33_33:                              ;   Parent Loop BB33_4 Depth=1
                                        ; =>  This Inner Loop Header: Depth=2
	v_lshlrev_b64 v[5:6], 2, v[3:4]
	s_mov_b32 s28, exec_lo
	v_add_co_u32 v5, vcc_lo, s21, v5
	v_add_co_ci_u32_e64 v6, null, s54, v6, vcc_lo
	global_load_dword v7, v[5:6], off
	s_waitcnt vmcnt(0)
	v_cmp_u_f32_e64 s26, v7, v7
	v_cmpx_o_f32_e32 v7, v7
	s_cbranch_execz .LBB33_35
; %bb.34:                               ;   in Loop: Header=BB33_33 Depth=2
	global_load_dword v5, v[5:6], off offset:4
	s_andn2_b32 s26, s26, exec_lo
	s_waitcnt vmcnt(0)
	v_cmp_u_f32_e32 vcc_lo, v5, v5
	v_cmp_le_f32_e64 s7, v7, v5
	s_or_b32 s7, vcc_lo, s7
	s_and_b32 s7, s7, exec_lo
	s_or_b32 s26, s26, s7
.LBB33_35:                              ;   in Loop: Header=BB33_33 Depth=2
	s_or_b32 exec_lo, exec_lo, s28
	s_mov_b32 s7, -1
	s_mov_b32 s28, -1
	s_and_saveexec_b32 s29, s26
	s_cbranch_execz .LBB33_32
; %bb.36:                               ;   in Loop: Header=BB33_33 Depth=2
	v_add_nc_u32_e32 v3, s53, v3
	s_xor_b32 s28, exec_lo, -1
	v_cmp_le_u32_e32 vcc_lo, s9, v3
	s_orn2_b32 s7, vcc_lo, exec_lo
	s_branch .LBB33_32
.LBB33_37:                              ;   in Loop: Header=BB33_4 Depth=1
	s_inst_prefetch 0x2
	s_or_b32 exec_lo, exec_lo, s18
	s_orn2_b32 s18, s19, exec_lo
.LBB33_38:                              ;   in Loop: Header=BB33_4 Depth=1
	s_or_b32 exec_lo, exec_lo, s8
.LBB33_39:                              ;   in Loop: Header=BB33_4 Depth=1
	s_mov_b32 s7, 0
	s_and_saveexec_b32 s8, s18
	s_cbranch_execz .LBB33_41
; %bb.40:                               ;   in Loop: Header=BB33_4 Depth=1
	s_mov_b32 s7, exec_lo
	s_barrier
	buffer_gl0_inv
.LBB33_41:                              ;   in Loop: Header=BB33_4 Depth=1
	s_or_b32 exec_lo, exec_lo, s8
.LBB33_42:                              ;   in Loop: Header=BB33_4 Depth=1
	s_andn2_b32 s50, s50, exec_lo
	s_or_b32 s49, s49, exec_lo
	s_and_saveexec_b32 s9, s7
	s_cbranch_execz .LBB33_3
; %bb.43:                               ;   in Loop: Header=BB33_4 Depth=1
	s_cmp_lg_u64 s[16:17], 0
	s_mov_b32 s21, -1
	s_cselect_b32 s7, -1, 0
	s_and_b32 s7, s7, s46
	s_barrier
	s_and_b32 vcc_lo, exec_lo, s7
	s_mov_b32 s7, -1
	buffer_gl0_inv
	s_cbranch_vccz .LBB33_64
; %bb.44:                               ;   in Loop: Header=BB33_4 Depth=1
	s_load_dwordx2 s[18:19], s[24:25], 0xc
	s_waitcnt lgkmcnt(0)
	s_lshr_b32 s7, s18, 16
	s_and_b32 s8, s18, 0xffff
	s_mul_i32 s52, s7, s8
	v_mul_u32_u24_e32 v5, s8, v1
	v_mul_lo_u32 v3, s52, v2
	s_and_b32 s7, s19, 0xffff
	s_cmp_lt_i32 s51, 0
	s_mul_i32 s52, s52, s7
	s_cselect_b32 s51, s34, s51
	s_cmp_eq_u32 s51, 0
	v_add3_u32 v5, v5, v0, v3
	s_cbranch_scc1 .LBB33_55
; %bb.45:                               ;   in Loop: Header=BB33_4 Depth=1
	v_cmp_eq_u32_e64 s7, 0, v5
	v_cmp_gt_u32_e64 s8, s34, v5
	s_mov_b32 s26, 0
	s_branch .LBB33_47
.LBB33_46:                              ;   in Loop: Header=BB33_47 Depth=2
	s_add_i32 s26, s26, 1
	s_cmp_eq_u32 s26, s51
	s_cbranch_scc1 .LBB33_55
.LBB33_47:                              ;   Parent Loop BB33_4 Depth=1
                                        ; =>  This Loop Header: Depth=2
                                        ;       Child Loop BB33_49 Depth 3
                                        ;         Child Loop BB33_54 Depth 4
	s_lshl_b64 s[18:19], s[26:27], 2
	s_add_u32 s18, s36, s18
	s_addc_u32 s19, s37, s19
	s_barrier
	s_branch .LBB33_49
.LBB33_48:                              ;   in Loop: Header=BB33_49 Depth=3
	s_or_b32 exec_lo, exec_lo, s30
	s_waitcnt_vscnt null, 0x0
	s_barrier
.LBB33_49:                              ;   Parent Loop BB33_4 Depth=1
                                        ;     Parent Loop BB33_47 Depth=2
                                        ; =>    This Loop Header: Depth=3
                                        ;         Child Loop BB33_54 Depth 4
	buffer_gl0_inv
	global_load_dword v3, v4, s[18:19]
	s_waitcnt vmcnt(0)
	v_cmp_eq_u32_e32 vcc_lo, s26, v3
	v_readfirstlane_b32 s28, v3
	s_cbranch_vccnz .LBB33_46
; %bb.50:                               ;   in Loop: Header=BB33_49 Depth=3
	s_ashr_i32 s29, s28, 31
	s_lshl_b64 s[30:31], s[28:29], 2
	s_add_u32 s30, s36, s30
	s_addc_u32 s31, s37, s31
	global_load_dword v3, v4, s[30:31]
	s_waitcnt vmcnt(0)
	s_barrier
	buffer_gl0_inv
	v_readfirstlane_b32 s53, v3
	s_and_saveexec_b32 s54, s7
	s_cbranch_execz .LBB33_52
; %bb.51:                               ;   in Loop: Header=BB33_49 Depth=3
	v_mov_b32_e32 v3, s28
	v_mov_b32_e32 v6, s53
	global_store_dword v4, v3, s[30:31]
	global_store_dword v4, v6, s[18:19]
.LBB33_52:                              ;   in Loop: Header=BB33_49 Depth=3
	s_or_b32 exec_lo, exec_lo, s54
	s_waitcnt_vscnt null, 0x0
	s_barrier
	buffer_gl0_inv
	s_and_saveexec_b32 s30, s8
	s_cbranch_execz .LBB33_48
; %bb.53:                               ;   in Loop: Header=BB33_49 Depth=3
	s_mul_i32 s29, s29, s45
	s_mul_hi_u32 s31, s28, s45
	s_mul_i32 s28, s28, s45
	s_add_i32 s29, s31, s29
	s_ashr_i32 s31, s53, 31
	s_mul_hi_u32 s54, s53, s45
	s_mul_i32 s31, s31, s45
	s_lshl_b64 s[28:29], s[28:29], 3
	s_add_i32 s55, s54, s31
	s_mul_i32 s54, s53, s45
	s_add_u32 s28, s16, s28
	s_addc_u32 s29, s17, s29
	s_lshl_b64 s[54:55], s[54:55], 3
	v_mov_b32_e32 v3, v5
	s_add_u32 s31, s16, s54
	s_addc_u32 s53, s17, s55
	s_mov_b32 s54, 0
	.p2align	6
.LBB33_54:                              ;   Parent Loop BB33_4 Depth=1
                                        ;     Parent Loop BB33_47 Depth=2
                                        ;       Parent Loop BB33_49 Depth=3
                                        ; =>      This Inner Loop Header: Depth=4
	v_lshlrev_b64 v[6:7], 3, v[3:4]
	v_add_nc_u32_e32 v3, s52, v3
	v_add_co_u32 v8, vcc_lo, s31, v6
	v_add_co_ci_u32_e64 v9, null, s53, v7, vcc_lo
	v_add_co_u32 v6, vcc_lo, s28, v6
	v_add_co_ci_u32_e64 v7, null, s29, v7, vcc_lo
	s_clause 0x1
	global_load_dwordx2 v[10:11], v[8:9], off
	global_load_dwordx2 v[12:13], v[6:7], off
	v_cmp_le_u32_e32 vcc_lo, s34, v3
	s_waitcnt vmcnt(1)
	global_store_dwordx2 v[6:7], v[10:11], off
	s_waitcnt vmcnt(0)
	global_store_dwordx2 v[8:9], v[12:13], off
	s_or_b32 s54, vcc_lo, s54
	s_andn2_b32 exec_lo, exec_lo, s54
	s_cbranch_execnz .LBB33_54
	s_branch .LBB33_48
.LBB33_55:                              ;   in Loop: Header=BB33_4 Depth=1
	s_mov_b32 s8, -1
	s_mov_b32 s7, exec_lo
	s_barrier
	buffer_gl0_inv
	v_cmpx_gt_u32_e64 s51, v5
	s_cbranch_execz .LBB33_61
; %bb.56:                               ;   in Loop: Header=BB33_4 Depth=1
	v_mov_b32_e32 v3, v5
	s_mov_b32 s8, 0
                                        ; implicit-def: $sgpr16
                                        ; implicit-def: $sgpr18
                                        ; implicit-def: $sgpr17
	s_inst_prefetch 0x1
	s_branch .LBB33_58
	.p2align	6
.LBB33_57:                              ;   in Loop: Header=BB33_58 Depth=2
	s_or_b32 exec_lo, exec_lo, s19
	s_xor_b32 s19, s17, -1
	s_and_b32 s26, exec_lo, s18
	s_or_b32 s8, s26, s8
	s_andn2_b32 s16, s16, exec_lo
	s_and_b32 s19, s19, exec_lo
	s_or_b32 s16, s16, s19
	s_andn2_b32 exec_lo, exec_lo, s8
	s_cbranch_execz .LBB33_60
.LBB33_58:                              ;   Parent Loop BB33_4 Depth=1
                                        ; =>  This Inner Loop Header: Depth=2
	v_lshlrev_b64 v[5:6], 2, v[3:4]
	s_or_b32 s17, s17, exec_lo
	s_or_b32 s18, s18, exec_lo
	s_mov_b32 s19, exec_lo
	v_add_co_u32 v5, vcc_lo, s36, v5
	v_add_co_ci_u32_e64 v6, null, s37, v6, vcc_lo
	global_load_dword v5, v[5:6], off
	s_waitcnt vmcnt(0)
	v_cmpx_eq_u32_e64 v3, v5
	s_cbranch_execz .LBB33_57
; %bb.59:                               ;   in Loop: Header=BB33_58 Depth=2
	v_add_nc_u32_e32 v3, s52, v3
	s_andn2_b32 s18, s18, exec_lo
	s_andn2_b32 s17, s17, exec_lo
	v_cmp_le_u32_e32 vcc_lo, s51, v3
	s_and_b32 s26, vcc_lo, exec_lo
	s_or_b32 s18, s18, s26
	s_branch .LBB33_57
.LBB33_60:                              ;   in Loop: Header=BB33_4 Depth=1
	s_inst_prefetch 0x2
	s_or_b32 exec_lo, exec_lo, s8
	s_orn2_b32 s8, s16, exec_lo
.LBB33_61:                              ;   in Loop: Header=BB33_4 Depth=1
	s_or_b32 exec_lo, exec_lo, s7
	s_mov_b32 s7, 0
	s_and_saveexec_b32 s16, s8
	s_cbranch_execz .LBB33_63
; %bb.62:                               ;   in Loop: Header=BB33_4 Depth=1
	s_mov_b32 s7, exec_lo
	s_barrier
	buffer_gl0_inv
.LBB33_63:                              ;   in Loop: Header=BB33_4 Depth=1
	s_or_b32 exec_lo, exec_lo, s16
.LBB33_64:                              ;   in Loop: Header=BB33_4 Depth=1
	s_mov_b32 s16, -1
	s_and_saveexec_b32 s8, s7
	s_cbranch_execz .LBB33_2
; %bb.65:                               ;   in Loop: Header=BB33_4 Depth=1
	s_add_i32 s20, s20, s35
	s_cmp_ge_i32 s20, s33
	s_barrier
	s_cselect_b32 s7, -1, 0
	s_xor_b32 s16, exec_lo, -1
	s_orn2_b32 s21, s7, exec_lo
	buffer_gl0_inv
	s_branch .LBB33_2
.LBB33_66:
	s_or_b32 exec_lo, exec_lo, s47
	s_xor_b32 s6, s48, -1
	s_mov_b32 s25, 0
	s_and_saveexec_b32 s7, s6
	s_xor_b32 s28, exec_lo, s7
	s_cbranch_execnz .LBB33_71
; %bb.67:
	s_andn2_saveexec_b32 s26, s28
	s_cbranch_execnz .LBB33_74
.LBB33_68:
	s_or_b32 exec_lo, exec_lo, s26
	s_and_saveexec_b32 s4, s25
.LBB33_69:
	; divergent unreachable
.LBB33_70:
	s_endpgm
.LBB33_71:
	s_mov_b32 s6, 0
	s_and_saveexec_b32 s7, s44
	s_xor_b32 s25, exec_lo, s7
	s_cbranch_execz .LBB33_73
; %bb.72:
	s_add_u32 s8, s4, 0x48
	s_addc_u32 s9, s5, 0
	s_getpc_b64 s[6:7]
	s_add_u32 s6, s6, .str.8@rel32@lo+4
	s_addc_u32 s7, s7, .str.8@rel32@hi+12
	s_getpc_b64 s[10:11]
	s_add_u32 s10, s10, __PRETTY_FUNCTION__._ZN9rocsolver6v33100L12permute_swapI19rocblas_complex_numIfEiEEvT0_PT_S4_PS4_S4_@rel32@lo+4
	s_addc_u32 s11, s11, __PRETTY_FUNCTION__._ZN9rocsolver6v33100L12permute_swapI19rocblas_complex_numIfEiEEvT0_PT_S4_PS4_S4_@rel32@hi+12
	v_mov_b32_e32 v0, s6
	v_mov_b32_e32 v1, s7
	;; [unrolled: 1-line block ×5, first 2 shown]
	s_getpc_b64 s[12:13]
	s_add_u32 s12, s12, __assert_fail@rel32@lo+4
	s_addc_u32 s13, s13, __assert_fail@rel32@hi+12
	s_mov_b64 s[26:27], s[4:5]
	s_swappc_b64 s[30:31], s[12:13]
	s_mov_b64 s[4:5], s[26:27]
	s_mov_b32 s6, exec_lo
.LBB33_73:
	s_or_b32 exec_lo, exec_lo, s25
	s_and_b32 s25, s6, exec_lo
	s_andn2_saveexec_b32 s26, s28
	s_cbranch_execz .LBB33_68
.LBB33_74:
	s_add_u32 s8, s4, 0x48
	s_addc_u32 s9, s5, 0
	s_getpc_b64 s[4:5]
	s_add_u32 s4, s4, .str.5@rel32@lo+4
	s_addc_u32 s5, s5, .str.5@rel32@hi+12
	s_getpc_b64 s[6:7]
	s_add_u32 s6, s6, __PRETTY_FUNCTION__._ZN9rocsolver6v33100L20shell_sort_ascendingIfiEEvT0_PT_PS2_@rel32@lo+4
	s_addc_u32 s7, s7, __PRETTY_FUNCTION__._ZN9rocsolver6v33100L20shell_sort_ascendingIfiEEvT0_PT_PS2_@rel32@hi+12
	v_mov_b32_e32 v0, s4
	v_mov_b32_e32 v1, s5
	;; [unrolled: 1-line block ×5, first 2 shown]
	s_getpc_b64 s[10:11]
	s_add_u32 s10, s10, __assert_fail@rel32@lo+4
	s_addc_u32 s11, s11, __assert_fail@rel32@hi+12
	s_swappc_b64 s[30:31], s[10:11]
	s_or_b32 s25, s25, exec_lo
	s_or_b32 exec_lo, exec_lo, s26
	s_and_saveexec_b32 s4, s25
	s_cbranch_execnz .LBB33_69
	s_branch .LBB33_70
	.section	.rodata,"a",@progbits
	.p2align	6, 0x0
	.amdhsa_kernel _ZN9rocsolver6v33100L11stedcx_sortI19rocblas_complex_numIfEfPS3_EEviPT0_lT1_iiliPiS8_
		.amdhsa_group_segment_fixed_size 0
		.amdhsa_private_segment_fixed_size 64
		.amdhsa_kernarg_size 328
		.amdhsa_user_sgpr_count 8
		.amdhsa_user_sgpr_private_segment_buffer 1
		.amdhsa_user_sgpr_dispatch_ptr 0
		.amdhsa_user_sgpr_queue_ptr 0
		.amdhsa_user_sgpr_kernarg_segment_ptr 1
		.amdhsa_user_sgpr_dispatch_id 0
		.amdhsa_user_sgpr_flat_scratch_init 1
		.amdhsa_user_sgpr_private_segment_size 0
		.amdhsa_wavefront_size32 1
		.amdhsa_uses_dynamic_stack 0
		.amdhsa_system_sgpr_private_segment_wavefront_offset 1
		.amdhsa_system_sgpr_workgroup_id_x 1
		.amdhsa_system_sgpr_workgroup_id_y 0
		.amdhsa_system_sgpr_workgroup_id_z 1
		.amdhsa_system_sgpr_workgroup_info 0
		.amdhsa_system_vgpr_workitem_id 2
		.amdhsa_next_free_vgpr 50
		.amdhsa_next_free_sgpr 58
		.amdhsa_reserve_vcc 1
		.amdhsa_reserve_flat_scratch 1
		.amdhsa_float_round_mode_32 0
		.amdhsa_float_round_mode_16_64 0
		.amdhsa_float_denorm_mode_32 3
		.amdhsa_float_denorm_mode_16_64 3
		.amdhsa_dx10_clamp 1
		.amdhsa_ieee_mode 1
		.amdhsa_fp16_overflow 0
		.amdhsa_workgroup_processor_mode 1
		.amdhsa_memory_ordered 1
		.amdhsa_forward_progress 1
		.amdhsa_shared_vgpr_count 0
		.amdhsa_exception_fp_ieee_invalid_op 0
		.amdhsa_exception_fp_denorm_src 0
		.amdhsa_exception_fp_ieee_div_zero 0
		.amdhsa_exception_fp_ieee_overflow 0
		.amdhsa_exception_fp_ieee_underflow 0
		.amdhsa_exception_fp_ieee_inexact 0
		.amdhsa_exception_int_div_zero 0
	.end_amdhsa_kernel
	.section	.text._ZN9rocsolver6v33100L11stedcx_sortI19rocblas_complex_numIfEfPS3_EEviPT0_lT1_iiliPiS8_,"axG",@progbits,_ZN9rocsolver6v33100L11stedcx_sortI19rocblas_complex_numIfEfPS3_EEviPT0_lT1_iiliPiS8_,comdat
.Lfunc_end33:
	.size	_ZN9rocsolver6v33100L11stedcx_sortI19rocblas_complex_numIfEfPS3_EEviPT0_lT1_iiliPiS8_, .Lfunc_end33-_ZN9rocsolver6v33100L11stedcx_sortI19rocblas_complex_numIfEfPS3_EEviPT0_lT1_iiliPiS8_
                                        ; -- End function
	.set _ZN9rocsolver6v33100L11stedcx_sortI19rocblas_complex_numIfEfPS3_EEviPT0_lT1_iiliPiS8_.num_vgpr, max(14, .L__assert_fail.num_vgpr)
	.set _ZN9rocsolver6v33100L11stedcx_sortI19rocblas_complex_numIfEfPS3_EEviPT0_lT1_iiliPiS8_.num_agpr, max(0, .L__assert_fail.num_agpr)
	.set _ZN9rocsolver6v33100L11stedcx_sortI19rocblas_complex_numIfEfPS3_EEviPT0_lT1_iiliPiS8_.numbered_sgpr, max(58, .L__assert_fail.numbered_sgpr)
	.set _ZN9rocsolver6v33100L11stedcx_sortI19rocblas_complex_numIfEfPS3_EEviPT0_lT1_iiliPiS8_.num_named_barrier, max(0, .L__assert_fail.num_named_barrier)
	.set _ZN9rocsolver6v33100L11stedcx_sortI19rocblas_complex_numIfEfPS3_EEviPT0_lT1_iiliPiS8_.private_seg_size, 0+max(.L__assert_fail.private_seg_size)
	.set _ZN9rocsolver6v33100L11stedcx_sortI19rocblas_complex_numIfEfPS3_EEviPT0_lT1_iiliPiS8_.uses_vcc, or(1, .L__assert_fail.uses_vcc)
	.set _ZN9rocsolver6v33100L11stedcx_sortI19rocblas_complex_numIfEfPS3_EEviPT0_lT1_iiliPiS8_.uses_flat_scratch, or(1, .L__assert_fail.uses_flat_scratch)
	.set _ZN9rocsolver6v33100L11stedcx_sortI19rocblas_complex_numIfEfPS3_EEviPT0_lT1_iiliPiS8_.has_dyn_sized_stack, or(0, .L__assert_fail.has_dyn_sized_stack)
	.set _ZN9rocsolver6v33100L11stedcx_sortI19rocblas_complex_numIfEfPS3_EEviPT0_lT1_iiliPiS8_.has_recursion, or(0, .L__assert_fail.has_recursion)
	.set _ZN9rocsolver6v33100L11stedcx_sortI19rocblas_complex_numIfEfPS3_EEviPT0_lT1_iiliPiS8_.has_indirect_call, or(0, .L__assert_fail.has_indirect_call)
	.section	.AMDGPU.csdata,"",@progbits
; Kernel info:
; codeLenInByte = 2576
; TotalNumSgprs: 60
; NumVgprs: 50
; ScratchSize: 64
; MemoryBound: 0
; FloatMode: 240
; IeeeMode: 1
; LDSByteSize: 0 bytes/workgroup (compile time only)
; SGPRBlocks: 0
; VGPRBlocks: 6
; NumSGPRsForWavesPerEU: 60
; NumVGPRsForWavesPerEU: 50
; Occupancy: 16
; WaveLimiterHint : 1
; COMPUTE_PGM_RSRC2:SCRATCH_EN: 1
; COMPUTE_PGM_RSRC2:USER_SGPR: 8
; COMPUTE_PGM_RSRC2:TRAP_HANDLER: 0
; COMPUTE_PGM_RSRC2:TGID_X_EN: 1
; COMPUTE_PGM_RSRC2:TGID_Y_EN: 0
; COMPUTE_PGM_RSRC2:TGID_Z_EN: 1
; COMPUTE_PGM_RSRC2:TIDIG_COMP_CNT: 2
	.section	.text._ZN9rocsolver6v33100L16reset_batch_infoI19rocblas_complex_numIdEiiPS3_EEvT2_lT0_T1_,"axG",@progbits,_ZN9rocsolver6v33100L16reset_batch_infoI19rocblas_complex_numIdEiiPS3_EEvT2_lT0_T1_,comdat
	.globl	_ZN9rocsolver6v33100L16reset_batch_infoI19rocblas_complex_numIdEiiPS3_EEvT2_lT0_T1_ ; -- Begin function _ZN9rocsolver6v33100L16reset_batch_infoI19rocblas_complex_numIdEiiPS3_EEvT2_lT0_T1_
	.p2align	8
	.type	_ZN9rocsolver6v33100L16reset_batch_infoI19rocblas_complex_numIdEiiPS3_EEvT2_lT0_T1_,@function
_ZN9rocsolver6v33100L16reset_batch_infoI19rocblas_complex_numIdEiiPS3_EEvT2_lT0_T1_: ; @_ZN9rocsolver6v33100L16reset_batch_infoI19rocblas_complex_numIdEiiPS3_EEvT2_lT0_T1_
; %bb.0:
	s_clause 0x1
	s_load_dword s2, s[4:5], 0x24
	s_load_dwordx2 s[0:1], s[4:5], 0x10
	s_waitcnt lgkmcnt(0)
	s_and_b32 s2, s2, 0xffff
	v_mad_u64_u32 v[0:1], null, s6, s2, v[0:1]
	v_cmp_gt_i32_e32 vcc_lo, s0, v0
	s_and_saveexec_b32 s0, vcc_lo
	s_cbranch_execz .LBB34_2
; %bb.1:
	s_load_dwordx4 s[8:11], s[4:5], 0x0
	v_cvt_f64_i32_e32 v[2:3], s1
	s_ashr_i32 s0, s7, 31
	v_ashrrev_i32_e32 v1, 31, v0
	v_mov_b32_e32 v4, 0
	v_lshlrev_b64 v[0:1], 4, v[0:1]
	v_mov_b32_e32 v5, v4
	s_waitcnt lgkmcnt(0)
	s_mul_hi_u32 s1, s10, s7
	s_mul_i32 s0, s10, s0
	s_mul_i32 s2, s11, s7
	s_add_i32 s1, s1, s0
	s_mul_i32 s0, s10, s7
	s_add_i32 s1, s1, s2
	s_lshl_b64 s[0:1], s[0:1], 4
	s_add_u32 s0, s8, s0
	s_addc_u32 s1, s9, s1
	v_add_co_u32 v0, vcc_lo, s0, v0
	v_add_co_ci_u32_e64 v1, null, s1, v1, vcc_lo
	global_store_dwordx4 v[0:1], v[2:5], off
.LBB34_2:
	s_endpgm
	.section	.rodata,"a",@progbits
	.p2align	6, 0x0
	.amdhsa_kernel _ZN9rocsolver6v33100L16reset_batch_infoI19rocblas_complex_numIdEiiPS3_EEvT2_lT0_T1_
		.amdhsa_group_segment_fixed_size 0
		.amdhsa_private_segment_fixed_size 0
		.amdhsa_kernarg_size 280
		.amdhsa_user_sgpr_count 6
		.amdhsa_user_sgpr_private_segment_buffer 1
		.amdhsa_user_sgpr_dispatch_ptr 0
		.amdhsa_user_sgpr_queue_ptr 0
		.amdhsa_user_sgpr_kernarg_segment_ptr 1
		.amdhsa_user_sgpr_dispatch_id 0
		.amdhsa_user_sgpr_flat_scratch_init 0
		.amdhsa_user_sgpr_private_segment_size 0
		.amdhsa_wavefront_size32 1
		.amdhsa_uses_dynamic_stack 0
		.amdhsa_system_sgpr_private_segment_wavefront_offset 0
		.amdhsa_system_sgpr_workgroup_id_x 1
		.amdhsa_system_sgpr_workgroup_id_y 1
		.amdhsa_system_sgpr_workgroup_id_z 0
		.amdhsa_system_sgpr_workgroup_info 0
		.amdhsa_system_vgpr_workitem_id 0
		.amdhsa_next_free_vgpr 6
		.amdhsa_next_free_sgpr 12
		.amdhsa_reserve_vcc 1
		.amdhsa_reserve_flat_scratch 0
		.amdhsa_float_round_mode_32 0
		.amdhsa_float_round_mode_16_64 0
		.amdhsa_float_denorm_mode_32 3
		.amdhsa_float_denorm_mode_16_64 3
		.amdhsa_dx10_clamp 1
		.amdhsa_ieee_mode 1
		.amdhsa_fp16_overflow 0
		.amdhsa_workgroup_processor_mode 1
		.amdhsa_memory_ordered 1
		.amdhsa_forward_progress 1
		.amdhsa_shared_vgpr_count 0
		.amdhsa_exception_fp_ieee_invalid_op 0
		.amdhsa_exception_fp_denorm_src 0
		.amdhsa_exception_fp_ieee_div_zero 0
		.amdhsa_exception_fp_ieee_overflow 0
		.amdhsa_exception_fp_ieee_underflow 0
		.amdhsa_exception_fp_ieee_inexact 0
		.amdhsa_exception_int_div_zero 0
	.end_amdhsa_kernel
	.section	.text._ZN9rocsolver6v33100L16reset_batch_infoI19rocblas_complex_numIdEiiPS3_EEvT2_lT0_T1_,"axG",@progbits,_ZN9rocsolver6v33100L16reset_batch_infoI19rocblas_complex_numIdEiiPS3_EEvT2_lT0_T1_,comdat
.Lfunc_end34:
	.size	_ZN9rocsolver6v33100L16reset_batch_infoI19rocblas_complex_numIdEiiPS3_EEvT2_lT0_T1_, .Lfunc_end34-_ZN9rocsolver6v33100L16reset_batch_infoI19rocblas_complex_numIdEiiPS3_EEvT2_lT0_T1_
                                        ; -- End function
	.set _ZN9rocsolver6v33100L16reset_batch_infoI19rocblas_complex_numIdEiiPS3_EEvT2_lT0_T1_.num_vgpr, 6
	.set _ZN9rocsolver6v33100L16reset_batch_infoI19rocblas_complex_numIdEiiPS3_EEvT2_lT0_T1_.num_agpr, 0
	.set _ZN9rocsolver6v33100L16reset_batch_infoI19rocblas_complex_numIdEiiPS3_EEvT2_lT0_T1_.numbered_sgpr, 12
	.set _ZN9rocsolver6v33100L16reset_batch_infoI19rocblas_complex_numIdEiiPS3_EEvT2_lT0_T1_.num_named_barrier, 0
	.set _ZN9rocsolver6v33100L16reset_batch_infoI19rocblas_complex_numIdEiiPS3_EEvT2_lT0_T1_.private_seg_size, 0
	.set _ZN9rocsolver6v33100L16reset_batch_infoI19rocblas_complex_numIdEiiPS3_EEvT2_lT0_T1_.uses_vcc, 1
	.set _ZN9rocsolver6v33100L16reset_batch_infoI19rocblas_complex_numIdEiiPS3_EEvT2_lT0_T1_.uses_flat_scratch, 0
	.set _ZN9rocsolver6v33100L16reset_batch_infoI19rocblas_complex_numIdEiiPS3_EEvT2_lT0_T1_.has_dyn_sized_stack, 0
	.set _ZN9rocsolver6v33100L16reset_batch_infoI19rocblas_complex_numIdEiiPS3_EEvT2_lT0_T1_.has_recursion, 0
	.set _ZN9rocsolver6v33100L16reset_batch_infoI19rocblas_complex_numIdEiiPS3_EEvT2_lT0_T1_.has_indirect_call, 0
	.section	.AMDGPU.csdata,"",@progbits
; Kernel info:
; codeLenInByte = 156
; TotalNumSgprs: 14
; NumVgprs: 6
; ScratchSize: 0
; MemoryBound: 0
; FloatMode: 240
; IeeeMode: 1
; LDSByteSize: 0 bytes/workgroup (compile time only)
; SGPRBlocks: 0
; VGPRBlocks: 0
; NumSGPRsForWavesPerEU: 14
; NumVGPRsForWavesPerEU: 6
; Occupancy: 16
; WaveLimiterHint : 0
; COMPUTE_PGM_RSRC2:SCRATCH_EN: 0
; COMPUTE_PGM_RSRC2:USER_SGPR: 6
; COMPUTE_PGM_RSRC2:TRAP_HANDLER: 0
; COMPUTE_PGM_RSRC2:TGID_X_EN: 1
; COMPUTE_PGM_RSRC2:TGID_Y_EN: 1
; COMPUTE_PGM_RSRC2:TGID_Z_EN: 0
; COMPUTE_PGM_RSRC2:TIDIG_COMP_CNT: 0
	.section	.text._ZN9rocsolver6v33100L10init_identI19rocblas_complex_numIdEPS3_EEviiT0_iil,"axG",@progbits,_ZN9rocsolver6v33100L10init_identI19rocblas_complex_numIdEPS3_EEviiT0_iil,comdat
	.globl	_ZN9rocsolver6v33100L10init_identI19rocblas_complex_numIdEPS3_EEviiT0_iil ; -- Begin function _ZN9rocsolver6v33100L10init_identI19rocblas_complex_numIdEPS3_EEviiT0_iil
	.p2align	8
	.type	_ZN9rocsolver6v33100L10init_identI19rocblas_complex_numIdEPS3_EEviiT0_iil,@function
_ZN9rocsolver6v33100L10init_identI19rocblas_complex_numIdEPS3_EEviiT0_iil: ; @_ZN9rocsolver6v33100L10init_identI19rocblas_complex_numIdEPS3_EEviiT0_iil
; %bb.0:
	s_clause 0x1
	s_load_dword s2, s[4:5], 0x2c
	s_load_dwordx2 s[0:1], s[4:5], 0x0
	s_waitcnt lgkmcnt(0)
	s_lshr_b32 s3, s2, 16
	s_and_b32 s2, s2, 0xffff
	v_mad_u64_u32 v[3:4], null, s6, s2, v[0:1]
	v_mad_u64_u32 v[0:1], null, s7, s3, v[1:2]
	v_cmp_gt_u32_e32 vcc_lo, s0, v3
	v_cmp_gt_u32_e64 s0, s1, v0
	s_and_b32 s0, vcc_lo, s0
	s_and_saveexec_b32 s1, s0
	s_cbranch_execz .LBB35_6
; %bb.1:
	s_load_dwordx2 s[0:1], s[4:5], 0x10
	s_mov_b32 s2, exec_lo
                                        ; implicit-def: $vgpr2
	v_cmpx_ne_u32_e64 v3, v0
	s_xor_b32 s2, exec_lo, s2
	s_cbranch_execz .LBB35_3
; %bb.2:
	s_waitcnt lgkmcnt(0)
	v_mad_u64_u32 v[2:3], null, v0, s1, v[3:4]
                                        ; implicit-def: $vgpr3_vgpr4
.LBB35_3:
	s_or_saveexec_b32 s2, s2
	v_mov_b32_e32 v0, 0
	v_mov_b32_e32 v1, 0
	s_xor_b32 exec_lo, exec_lo, s2
	s_cbranch_execz .LBB35_5
; %bb.4:
	s_waitcnt lgkmcnt(0)
	v_mad_u64_u32 v[2:3], null, v3, s1, v[3:4]
	v_mov_b32_e32 v0, 0
	v_mov_b32_e32 v1, 0x3ff00000
.LBB35_5:
	s_or_b32 exec_lo, exec_lo, s2
	s_clause 0x1
	s_load_dwordx2 s[2:3], s[4:5], 0x18
	s_load_dwordx2 s[4:5], s[4:5], 0x8
	v_mov_b32_e32 v3, 0
	v_lshlrev_b64 v[4:5], 4, v[2:3]
	v_mov_b32_e32 v2, v3
	s_waitcnt lgkmcnt(0)
	s_mul_i32 s1, s3, s8
	s_mul_hi_u32 s3, s2, s8
	s_mul_i32 s2, s2, s8
	s_add_i32 s3, s3, s1
	s_ashr_i32 s1, s0, 31
	s_lshl_b64 s[2:3], s[2:3], 4
	s_add_u32 s2, s4, s2
	s_addc_u32 s3, s5, s3
	s_lshl_b64 s[0:1], s[0:1], 4
	s_add_u32 s0, s2, s0
	s_addc_u32 s1, s3, s1
	v_add_co_u32 v4, vcc_lo, s0, v4
	v_add_co_ci_u32_e64 v5, null, s1, v5, vcc_lo
	global_store_dwordx4 v[4:5], v[0:3], off
.LBB35_6:
	s_endpgm
	.section	.rodata,"a",@progbits
	.p2align	6, 0x0
	.amdhsa_kernel _ZN9rocsolver6v33100L10init_identI19rocblas_complex_numIdEPS3_EEviiT0_iil
		.amdhsa_group_segment_fixed_size 0
		.amdhsa_private_segment_fixed_size 0
		.amdhsa_kernarg_size 288
		.amdhsa_user_sgpr_count 6
		.amdhsa_user_sgpr_private_segment_buffer 1
		.amdhsa_user_sgpr_dispatch_ptr 0
		.amdhsa_user_sgpr_queue_ptr 0
		.amdhsa_user_sgpr_kernarg_segment_ptr 1
		.amdhsa_user_sgpr_dispatch_id 0
		.amdhsa_user_sgpr_flat_scratch_init 0
		.amdhsa_user_sgpr_private_segment_size 0
		.amdhsa_wavefront_size32 1
		.amdhsa_uses_dynamic_stack 0
		.amdhsa_system_sgpr_private_segment_wavefront_offset 0
		.amdhsa_system_sgpr_workgroup_id_x 1
		.amdhsa_system_sgpr_workgroup_id_y 1
		.amdhsa_system_sgpr_workgroup_id_z 1
		.amdhsa_system_sgpr_workgroup_info 0
		.amdhsa_system_vgpr_workitem_id 1
		.amdhsa_next_free_vgpr 6
		.amdhsa_next_free_sgpr 9
		.amdhsa_reserve_vcc 1
		.amdhsa_reserve_flat_scratch 0
		.amdhsa_float_round_mode_32 0
		.amdhsa_float_round_mode_16_64 0
		.amdhsa_float_denorm_mode_32 3
		.amdhsa_float_denorm_mode_16_64 3
		.amdhsa_dx10_clamp 1
		.amdhsa_ieee_mode 1
		.amdhsa_fp16_overflow 0
		.amdhsa_workgroup_processor_mode 1
		.amdhsa_memory_ordered 1
		.amdhsa_forward_progress 1
		.amdhsa_shared_vgpr_count 0
		.amdhsa_exception_fp_ieee_invalid_op 0
		.amdhsa_exception_fp_denorm_src 0
		.amdhsa_exception_fp_ieee_div_zero 0
		.amdhsa_exception_fp_ieee_overflow 0
		.amdhsa_exception_fp_ieee_underflow 0
		.amdhsa_exception_fp_ieee_inexact 0
		.amdhsa_exception_int_div_zero 0
	.end_amdhsa_kernel
	.section	.text._ZN9rocsolver6v33100L10init_identI19rocblas_complex_numIdEPS3_EEviiT0_iil,"axG",@progbits,_ZN9rocsolver6v33100L10init_identI19rocblas_complex_numIdEPS3_EEviiT0_iil,comdat
.Lfunc_end35:
	.size	_ZN9rocsolver6v33100L10init_identI19rocblas_complex_numIdEPS3_EEviiT0_iil, .Lfunc_end35-_ZN9rocsolver6v33100L10init_identI19rocblas_complex_numIdEPS3_EEviiT0_iil
                                        ; -- End function
	.set _ZN9rocsolver6v33100L10init_identI19rocblas_complex_numIdEPS3_EEviiT0_iil.num_vgpr, 6
	.set _ZN9rocsolver6v33100L10init_identI19rocblas_complex_numIdEPS3_EEviiT0_iil.num_agpr, 0
	.set _ZN9rocsolver6v33100L10init_identI19rocblas_complex_numIdEPS3_EEviiT0_iil.numbered_sgpr, 9
	.set _ZN9rocsolver6v33100L10init_identI19rocblas_complex_numIdEPS3_EEviiT0_iil.num_named_barrier, 0
	.set _ZN9rocsolver6v33100L10init_identI19rocblas_complex_numIdEPS3_EEviiT0_iil.private_seg_size, 0
	.set _ZN9rocsolver6v33100L10init_identI19rocblas_complex_numIdEPS3_EEviiT0_iil.uses_vcc, 1
	.set _ZN9rocsolver6v33100L10init_identI19rocblas_complex_numIdEPS3_EEviiT0_iil.uses_flat_scratch, 0
	.set _ZN9rocsolver6v33100L10init_identI19rocblas_complex_numIdEPS3_EEviiT0_iil.has_dyn_sized_stack, 0
	.set _ZN9rocsolver6v33100L10init_identI19rocblas_complex_numIdEPS3_EEviiT0_iil.has_recursion, 0
	.set _ZN9rocsolver6v33100L10init_identI19rocblas_complex_numIdEPS3_EEviiT0_iil.has_indirect_call, 0
	.section	.AMDGPU.csdata,"",@progbits
; Kernel info:
; codeLenInByte = 276
; TotalNumSgprs: 11
; NumVgprs: 6
; ScratchSize: 0
; MemoryBound: 0
; FloatMode: 240
; IeeeMode: 1
; LDSByteSize: 0 bytes/workgroup (compile time only)
; SGPRBlocks: 0
; VGPRBlocks: 0
; NumSGPRsForWavesPerEU: 11
; NumVGPRsForWavesPerEU: 6
; Occupancy: 16
; WaveLimiterHint : 0
; COMPUTE_PGM_RSRC2:SCRATCH_EN: 0
; COMPUTE_PGM_RSRC2:USER_SGPR: 6
; COMPUTE_PGM_RSRC2:TRAP_HANDLER: 0
; COMPUTE_PGM_RSRC2:TGID_X_EN: 1
; COMPUTE_PGM_RSRC2:TGID_Y_EN: 1
; COMPUTE_PGM_RSRC2:TGID_Z_EN: 1
; COMPUTE_PGM_RSRC2:TIDIG_COMP_CNT: 1
	.section	.text._ZN9rocsolver6v33100L8copy_matI19rocblas_complex_numIdEdLb1EPS3_TnNSt9enable_ifIX18rocblas_is_complexIT_EEiE4typeELi0EEEvNS0_17copymat_directionEiiT2_iilPT0_13rocblas_fill_17rocblas_diagonal_,"axG",@progbits,_ZN9rocsolver6v33100L8copy_matI19rocblas_complex_numIdEdLb1EPS3_TnNSt9enable_ifIX18rocblas_is_complexIT_EEiE4typeELi0EEEvNS0_17copymat_directionEiiT2_iilPT0_13rocblas_fill_17rocblas_diagonal_,comdat
	.globl	_ZN9rocsolver6v33100L8copy_matI19rocblas_complex_numIdEdLb1EPS3_TnNSt9enable_ifIX18rocblas_is_complexIT_EEiE4typeELi0EEEvNS0_17copymat_directionEiiT2_iilPT0_13rocblas_fill_17rocblas_diagonal_ ; -- Begin function _ZN9rocsolver6v33100L8copy_matI19rocblas_complex_numIdEdLb1EPS3_TnNSt9enable_ifIX18rocblas_is_complexIT_EEiE4typeELi0EEEvNS0_17copymat_directionEiiT2_iilPT0_13rocblas_fill_17rocblas_diagonal_
	.p2align	8
	.type	_ZN9rocsolver6v33100L8copy_matI19rocblas_complex_numIdEdLb1EPS3_TnNSt9enable_ifIX18rocblas_is_complexIT_EEiE4typeELi0EEEvNS0_17copymat_directionEiiT2_iilPT0_13rocblas_fill_17rocblas_diagonal_,@function
_ZN9rocsolver6v33100L8copy_matI19rocblas_complex_numIdEdLb1EPS3_TnNSt9enable_ifIX18rocblas_is_complexIT_EEiE4typeELi0EEEvNS0_17copymat_directionEiiT2_iilPT0_13rocblas_fill_17rocblas_diagonal_: ; @_ZN9rocsolver6v33100L8copy_matI19rocblas_complex_numIdEdLb1EPS3_TnNSt9enable_ifIX18rocblas_is_complexIT_EEiE4typeELi0EEEvNS0_17copymat_directionEiiT2_iilPT0_13rocblas_fill_17rocblas_diagonal_
; %bb.0:
	s_clause 0x1
	s_load_dword s0, s[4:5], 0x44
	s_load_dwordx4 s[12:15], s[4:5], 0x0
	s_waitcnt lgkmcnt(0)
	s_lshr_b32 s1, s0, 16
	s_and_b32 s0, s0, 0xffff
	v_mad_u64_u32 v[2:3], null, s6, s0, v[0:1]
	v_mad_u64_u32 v[0:1], null, s7, s1, v[1:2]
	v_cmp_gt_u32_e32 vcc_lo, s13, v2
	v_cmp_gt_u32_e64 s0, s14, v0
	s_and_b32 s0, s0, vcc_lo
	s_and_saveexec_b32 s1, s0
	s_cbranch_execz .LBB36_16
; %bb.1:
	s_load_dwordx2 s[2:3], s[4:5], 0x30
	s_mov_b32 s9, s13
	s_waitcnt lgkmcnt(0)
	s_cmpk_lt_i32 s2, 0x7a
	s_cbranch_scc1 .LBB36_4
; %bb.2:
	s_cmpk_gt_i32 s2, 0x7a
	s_cbranch_scc0 .LBB36_5
; %bb.3:
	s_cmpk_lg_i32 s2, 0x7b
	s_mov_b32 s1, -1
	s_cselect_b32 s6, -1, 0
	s_cbranch_execz .LBB36_6
	s_branch .LBB36_7
.LBB36_4:
	s_mov_b32 s6, 0
	s_mov_b32 s1, 0
	s_cbranch_execnz .LBB36_8
	s_branch .LBB36_10
.LBB36_5:
	s_mov_b32 s1, 0
	s_mov_b32 s6, 0
.LBB36_6:
	v_cmp_gt_u32_e32 vcc_lo, v2, v0
	v_cmp_le_u32_e64 s0, v2, v0
	s_andn2_b32 s1, s1, exec_lo
	s_andn2_b32 s6, s6, exec_lo
	s_and_b32 s7, vcc_lo, exec_lo
	s_and_b32 s0, s0, exec_lo
	s_or_b32 s1, s1, s7
	s_or_b32 s6, s6, s0
.LBB36_7:
	s_branch .LBB36_10
.LBB36_8:
	s_cmpk_eq_i32 s2, 0x79
	s_mov_b32 s6, -1
	s_cbranch_scc0 .LBB36_10
; %bb.9:
	v_cmp_gt_u32_e32 vcc_lo, v0, v2
	v_cmp_le_u32_e64 s0, v0, v2
	s_andn2_b32 s1, s1, exec_lo
	s_and_b32 s2, vcc_lo, exec_lo
	s_orn2_b32 s6, s0, exec_lo
	s_or_b32 s1, s1, s2
.LBB36_10:
	s_and_saveexec_b32 s0, s6
; %bb.11:
	v_cmp_eq_u32_e32 vcc_lo, v2, v0
	s_cmpk_eq_i32 s3, 0x83
	s_cselect_b32 s2, -1, 0
	s_andn2_b32 s1, s1, exec_lo
	s_and_b32 s2, s2, vcc_lo
	s_and_b32 s2, s2, exec_lo
	s_or_b32 s1, s1, s2
; %bb.12:
	s_or_b32 exec_lo, exec_lo, s0
	s_and_b32 exec_lo, exec_lo, s1
	s_cbranch_execz .LBB36_16
; %bb.13:
	s_load_dwordx8 s[0:7], s[4:5], 0x10
	s_ashr_i32 s10, s13, 31
	s_ashr_i32 s11, s14, 31
	s_mul_i32 s16, s10, s8
	s_mul_hi_u32 s15, s13, s8
	s_mul_i32 s13, s13, s8
	s_mul_i32 s17, s13, s11
	s_waitcnt lgkmcnt(0)
	s_mul_i32 s5, s5, s8
	s_mul_hi_u32 s10, s4, s8
	s_mul_i32 s4, s4, s8
	s_add_i32 s5, s10, s5
	s_ashr_i32 s11, s2, 31
	s_lshl_b64 s[4:5], s[4:5], 4
	s_mov_b32 s10, s2
	s_add_u32 s2, s0, s4
	s_addc_u32 s4, s1, s5
	s_lshl_b64 s[0:1], s[10:11], 4
	s_mul_hi_u32 s5, s13, s14
	s_add_u32 s0, s2, s0
	s_addc_u32 s1, s4, s1
	s_add_i32 s2, s15, s16
	s_add_i32 s4, s5, s17
	s_mul_i32 s2, s2, s14
	s_add_i32 s5, s4, s2
	s_mul_i32 s4, s13, s14
	s_lshl_b64 s[4:5], s[4:5], 3
	s_add_u32 s2, s6, s4
	s_addc_u32 s4, s7, s5
	s_cmp_lg_u32 s12, 0
	s_mov_b32 s5, 0
	s_cbranch_scc0 .LBB36_17
; %bb.14:
	v_mad_u64_u32 v[3:4], null, v0, s9, v[2:3]
	v_mov_b32_e32 v4, 0
	v_lshlrev_b64 v[5:6], 3, v[3:4]
	v_mad_u64_u32 v[7:8], null, v0, s3, v[2:3]
	v_mov_b32_e32 v8, v4
	v_add_co_u32 v5, vcc_lo, s2, v5
	v_add_co_ci_u32_e64 v6, null, s4, v6, vcc_lo
	v_lshlrev_b64 v[3:4], 4, v[7:8]
	global_load_dwordx2 v[5:6], v[5:6], off
	v_add_co_u32 v3, vcc_lo, s0, v3
	v_add_co_ci_u32_e64 v4, null, s1, v4, vcc_lo
	s_waitcnt vmcnt(0)
	global_store_dwordx2 v[3:4], v[5:6], off
	s_andn2_b32 vcc_lo, exec_lo, s5
	s_cbranch_vccnz .LBB36_16
.LBB36_15:
	v_mad_u64_u32 v[3:4], null, v0, s3, v[2:3]
	v_mov_b32_e32 v4, 0
	v_lshlrev_b64 v[5:6], 4, v[3:4]
	v_mad_u64_u32 v[0:1], null, v0, s9, v[2:3]
	v_mov_b32_e32 v1, v4
	v_add_co_u32 v5, vcc_lo, s0, v5
	v_add_co_ci_u32_e64 v6, null, s1, v6, vcc_lo
	v_lshlrev_b64 v[0:1], 3, v[0:1]
	global_load_dwordx2 v[5:6], v[5:6], off
	v_add_co_u32 v0, vcc_lo, s2, v0
	v_add_co_ci_u32_e64 v1, null, s4, v1, vcc_lo
	s_waitcnt vmcnt(0)
	global_store_dwordx2 v[0:1], v[5:6], off
.LBB36_16:
	s_endpgm
.LBB36_17:
	s_branch .LBB36_15
	.section	.rodata,"a",@progbits
	.p2align	6, 0x0
	.amdhsa_kernel _ZN9rocsolver6v33100L8copy_matI19rocblas_complex_numIdEdLb1EPS3_TnNSt9enable_ifIX18rocblas_is_complexIT_EEiE4typeELi0EEEvNS0_17copymat_directionEiiT2_iilPT0_13rocblas_fill_17rocblas_diagonal_
		.amdhsa_group_segment_fixed_size 0
		.amdhsa_private_segment_fixed_size 0
		.amdhsa_kernarg_size 312
		.amdhsa_user_sgpr_count 6
		.amdhsa_user_sgpr_private_segment_buffer 1
		.amdhsa_user_sgpr_dispatch_ptr 0
		.amdhsa_user_sgpr_queue_ptr 0
		.amdhsa_user_sgpr_kernarg_segment_ptr 1
		.amdhsa_user_sgpr_dispatch_id 0
		.amdhsa_user_sgpr_flat_scratch_init 0
		.amdhsa_user_sgpr_private_segment_size 0
		.amdhsa_wavefront_size32 1
		.amdhsa_uses_dynamic_stack 0
		.amdhsa_system_sgpr_private_segment_wavefront_offset 0
		.amdhsa_system_sgpr_workgroup_id_x 1
		.amdhsa_system_sgpr_workgroup_id_y 1
		.amdhsa_system_sgpr_workgroup_id_z 1
		.amdhsa_system_sgpr_workgroup_info 0
		.amdhsa_system_vgpr_workitem_id 1
		.amdhsa_next_free_vgpr 9
		.amdhsa_next_free_sgpr 18
		.amdhsa_reserve_vcc 1
		.amdhsa_reserve_flat_scratch 0
		.amdhsa_float_round_mode_32 0
		.amdhsa_float_round_mode_16_64 0
		.amdhsa_float_denorm_mode_32 3
		.amdhsa_float_denorm_mode_16_64 3
		.amdhsa_dx10_clamp 1
		.amdhsa_ieee_mode 1
		.amdhsa_fp16_overflow 0
		.amdhsa_workgroup_processor_mode 1
		.amdhsa_memory_ordered 1
		.amdhsa_forward_progress 1
		.amdhsa_shared_vgpr_count 0
		.amdhsa_exception_fp_ieee_invalid_op 0
		.amdhsa_exception_fp_denorm_src 0
		.amdhsa_exception_fp_ieee_div_zero 0
		.amdhsa_exception_fp_ieee_overflow 0
		.amdhsa_exception_fp_ieee_underflow 0
		.amdhsa_exception_fp_ieee_inexact 0
		.amdhsa_exception_int_div_zero 0
	.end_amdhsa_kernel
	.section	.text._ZN9rocsolver6v33100L8copy_matI19rocblas_complex_numIdEdLb1EPS3_TnNSt9enable_ifIX18rocblas_is_complexIT_EEiE4typeELi0EEEvNS0_17copymat_directionEiiT2_iilPT0_13rocblas_fill_17rocblas_diagonal_,"axG",@progbits,_ZN9rocsolver6v33100L8copy_matI19rocblas_complex_numIdEdLb1EPS3_TnNSt9enable_ifIX18rocblas_is_complexIT_EEiE4typeELi0EEEvNS0_17copymat_directionEiiT2_iilPT0_13rocblas_fill_17rocblas_diagonal_,comdat
.Lfunc_end36:
	.size	_ZN9rocsolver6v33100L8copy_matI19rocblas_complex_numIdEdLb1EPS3_TnNSt9enable_ifIX18rocblas_is_complexIT_EEiE4typeELi0EEEvNS0_17copymat_directionEiiT2_iilPT0_13rocblas_fill_17rocblas_diagonal_, .Lfunc_end36-_ZN9rocsolver6v33100L8copy_matI19rocblas_complex_numIdEdLb1EPS3_TnNSt9enable_ifIX18rocblas_is_complexIT_EEiE4typeELi0EEEvNS0_17copymat_directionEiiT2_iilPT0_13rocblas_fill_17rocblas_diagonal_
                                        ; -- End function
	.set _ZN9rocsolver6v33100L8copy_matI19rocblas_complex_numIdEdLb1EPS3_TnNSt9enable_ifIX18rocblas_is_complexIT_EEiE4typeELi0EEEvNS0_17copymat_directionEiiT2_iilPT0_13rocblas_fill_17rocblas_diagonal_.num_vgpr, 9
	.set _ZN9rocsolver6v33100L8copy_matI19rocblas_complex_numIdEdLb1EPS3_TnNSt9enable_ifIX18rocblas_is_complexIT_EEiE4typeELi0EEEvNS0_17copymat_directionEiiT2_iilPT0_13rocblas_fill_17rocblas_diagonal_.num_agpr, 0
	.set _ZN9rocsolver6v33100L8copy_matI19rocblas_complex_numIdEdLb1EPS3_TnNSt9enable_ifIX18rocblas_is_complexIT_EEiE4typeELi0EEEvNS0_17copymat_directionEiiT2_iilPT0_13rocblas_fill_17rocblas_diagonal_.numbered_sgpr, 18
	.set _ZN9rocsolver6v33100L8copy_matI19rocblas_complex_numIdEdLb1EPS3_TnNSt9enable_ifIX18rocblas_is_complexIT_EEiE4typeELi0EEEvNS0_17copymat_directionEiiT2_iilPT0_13rocblas_fill_17rocblas_diagonal_.num_named_barrier, 0
	.set _ZN9rocsolver6v33100L8copy_matI19rocblas_complex_numIdEdLb1EPS3_TnNSt9enable_ifIX18rocblas_is_complexIT_EEiE4typeELi0EEEvNS0_17copymat_directionEiiT2_iilPT0_13rocblas_fill_17rocblas_diagonal_.private_seg_size, 0
	.set _ZN9rocsolver6v33100L8copy_matI19rocblas_complex_numIdEdLb1EPS3_TnNSt9enable_ifIX18rocblas_is_complexIT_EEiE4typeELi0EEEvNS0_17copymat_directionEiiT2_iilPT0_13rocblas_fill_17rocblas_diagonal_.uses_vcc, 1
	.set _ZN9rocsolver6v33100L8copy_matI19rocblas_complex_numIdEdLb1EPS3_TnNSt9enable_ifIX18rocblas_is_complexIT_EEiE4typeELi0EEEvNS0_17copymat_directionEiiT2_iilPT0_13rocblas_fill_17rocblas_diagonal_.uses_flat_scratch, 0
	.set _ZN9rocsolver6v33100L8copy_matI19rocblas_complex_numIdEdLb1EPS3_TnNSt9enable_ifIX18rocblas_is_complexIT_EEiE4typeELi0EEEvNS0_17copymat_directionEiiT2_iilPT0_13rocblas_fill_17rocblas_diagonal_.has_dyn_sized_stack, 0
	.set _ZN9rocsolver6v33100L8copy_matI19rocblas_complex_numIdEdLb1EPS3_TnNSt9enable_ifIX18rocblas_is_complexIT_EEiE4typeELi0EEEvNS0_17copymat_directionEiiT2_iilPT0_13rocblas_fill_17rocblas_diagonal_.has_recursion, 0
	.set _ZN9rocsolver6v33100L8copy_matI19rocblas_complex_numIdEdLb1EPS3_TnNSt9enable_ifIX18rocblas_is_complexIT_EEiE4typeELi0EEEvNS0_17copymat_directionEiiT2_iilPT0_13rocblas_fill_17rocblas_diagonal_.has_indirect_call, 0
	.section	.AMDGPU.csdata,"",@progbits
; Kernel info:
; codeLenInByte = 608
; TotalNumSgprs: 20
; NumVgprs: 9
; ScratchSize: 0
; MemoryBound: 0
; FloatMode: 240
; IeeeMode: 1
; LDSByteSize: 0 bytes/workgroup (compile time only)
; SGPRBlocks: 0
; VGPRBlocks: 1
; NumSGPRsForWavesPerEU: 20
; NumVGPRsForWavesPerEU: 9
; Occupancy: 16
; WaveLimiterHint : 0
; COMPUTE_PGM_RSRC2:SCRATCH_EN: 0
; COMPUTE_PGM_RSRC2:USER_SGPR: 6
; COMPUTE_PGM_RSRC2:TRAP_HANDLER: 0
; COMPUTE_PGM_RSRC2:TGID_X_EN: 1
; COMPUTE_PGM_RSRC2:TGID_Y_EN: 1
; COMPUTE_PGM_RSRC2:TGID_Z_EN: 1
; COMPUTE_PGM_RSRC2:TIDIG_COMP_CNT: 1
	.section	.text._ZN9rocsolver6v33100L8copy_matI19rocblas_complex_numIdEdLb0EPS3_TnNSt9enable_ifIX18rocblas_is_complexIT_EEiE4typeELi0EEEvNS0_17copymat_directionEiiT2_iilPT0_13rocblas_fill_17rocblas_diagonal_,"axG",@progbits,_ZN9rocsolver6v33100L8copy_matI19rocblas_complex_numIdEdLb0EPS3_TnNSt9enable_ifIX18rocblas_is_complexIT_EEiE4typeELi0EEEvNS0_17copymat_directionEiiT2_iilPT0_13rocblas_fill_17rocblas_diagonal_,comdat
	.globl	_ZN9rocsolver6v33100L8copy_matI19rocblas_complex_numIdEdLb0EPS3_TnNSt9enable_ifIX18rocblas_is_complexIT_EEiE4typeELi0EEEvNS0_17copymat_directionEiiT2_iilPT0_13rocblas_fill_17rocblas_diagonal_ ; -- Begin function _ZN9rocsolver6v33100L8copy_matI19rocblas_complex_numIdEdLb0EPS3_TnNSt9enable_ifIX18rocblas_is_complexIT_EEiE4typeELi0EEEvNS0_17copymat_directionEiiT2_iilPT0_13rocblas_fill_17rocblas_diagonal_
	.p2align	8
	.type	_ZN9rocsolver6v33100L8copy_matI19rocblas_complex_numIdEdLb0EPS3_TnNSt9enable_ifIX18rocblas_is_complexIT_EEiE4typeELi0EEEvNS0_17copymat_directionEiiT2_iilPT0_13rocblas_fill_17rocblas_diagonal_,@function
_ZN9rocsolver6v33100L8copy_matI19rocblas_complex_numIdEdLb0EPS3_TnNSt9enable_ifIX18rocblas_is_complexIT_EEiE4typeELi0EEEvNS0_17copymat_directionEiiT2_iilPT0_13rocblas_fill_17rocblas_diagonal_: ; @_ZN9rocsolver6v33100L8copy_matI19rocblas_complex_numIdEdLb0EPS3_TnNSt9enable_ifIX18rocblas_is_complexIT_EEiE4typeELi0EEEvNS0_17copymat_directionEiiT2_iilPT0_13rocblas_fill_17rocblas_diagonal_
; %bb.0:
	s_clause 0x1
	s_load_dword s0, s[4:5], 0x44
	s_load_dwordx4 s[12:15], s[4:5], 0x0
	s_waitcnt lgkmcnt(0)
	s_lshr_b32 s1, s0, 16
	s_and_b32 s0, s0, 0xffff
	v_mad_u64_u32 v[2:3], null, s6, s0, v[0:1]
	v_mad_u64_u32 v[0:1], null, s7, s1, v[1:2]
	v_cmp_gt_u32_e32 vcc_lo, s13, v2
	v_cmp_gt_u32_e64 s0, s14, v0
	s_and_b32 s0, s0, vcc_lo
	s_and_saveexec_b32 s1, s0
	s_cbranch_execz .LBB37_16
; %bb.1:
	s_load_dwordx2 s[2:3], s[4:5], 0x30
	s_mov_b32 s9, s13
	s_waitcnt lgkmcnt(0)
	s_cmpk_lt_i32 s2, 0x7a
	s_cbranch_scc1 .LBB37_4
; %bb.2:
	s_cmpk_gt_i32 s2, 0x7a
	s_cbranch_scc0 .LBB37_5
; %bb.3:
	s_cmpk_lg_i32 s2, 0x7b
	s_mov_b32 s1, -1
	s_cselect_b32 s6, -1, 0
	s_cbranch_execz .LBB37_6
	s_branch .LBB37_7
.LBB37_4:
	s_mov_b32 s6, 0
	s_mov_b32 s1, 0
	s_cbranch_execnz .LBB37_8
	s_branch .LBB37_10
.LBB37_5:
	s_mov_b32 s1, 0
	s_mov_b32 s6, 0
.LBB37_6:
	v_cmp_gt_u32_e32 vcc_lo, v2, v0
	v_cmp_le_u32_e64 s0, v2, v0
	s_andn2_b32 s1, s1, exec_lo
	s_andn2_b32 s6, s6, exec_lo
	s_and_b32 s7, vcc_lo, exec_lo
	s_and_b32 s0, s0, exec_lo
	s_or_b32 s1, s1, s7
	s_or_b32 s6, s6, s0
.LBB37_7:
	s_branch .LBB37_10
.LBB37_8:
	s_cmpk_eq_i32 s2, 0x79
	s_mov_b32 s6, -1
	s_cbranch_scc0 .LBB37_10
; %bb.9:
	v_cmp_gt_u32_e32 vcc_lo, v0, v2
	v_cmp_le_u32_e64 s0, v0, v2
	s_andn2_b32 s1, s1, exec_lo
	s_and_b32 s2, vcc_lo, exec_lo
	s_orn2_b32 s6, s0, exec_lo
	s_or_b32 s1, s1, s2
.LBB37_10:
	s_and_saveexec_b32 s0, s6
; %bb.11:
	v_cmp_eq_u32_e32 vcc_lo, v2, v0
	s_cmpk_eq_i32 s3, 0x83
	s_cselect_b32 s2, -1, 0
	s_andn2_b32 s1, s1, exec_lo
	s_and_b32 s2, s2, vcc_lo
	s_and_b32 s2, s2, exec_lo
	s_or_b32 s1, s1, s2
; %bb.12:
	s_or_b32 exec_lo, exec_lo, s0
	s_and_b32 exec_lo, exec_lo, s1
	s_cbranch_execz .LBB37_16
; %bb.13:
	s_load_dwordx8 s[0:7], s[4:5], 0x10
	s_ashr_i32 s10, s13, 31
	s_ashr_i32 s11, s14, 31
	s_mul_hi_u32 s15, s13, s8
	s_mul_i32 s13, s13, s8
	s_mul_i32 s18, s10, s8
	;; [unrolled: 1-line block ×3, first 2 shown]
	s_mul_hi_u32 s19, s13, s14
	s_mul_i32 s10, s13, s14
	s_waitcnt lgkmcnt(0)
	s_mul_i32 s5, s5, s8
	s_mul_hi_u32 s13, s4, s8
	v_mad_u64_u32 v[4:5], null, v0, s3, v[2:3]
	s_mul_i32 s4, s4, s8
	s_add_i32 s5, s13, s5
	v_mov_b32_e32 v5, 0
	s_lshl_b64 s[4:5], s[4:5], 4
	s_ashr_i32 s17, s2, 31
	s_mov_b32 s16, s2
	s_add_u32 s2, s0, s4
	s_addc_u32 s3, s1, s5
	s_lshl_b64 s[0:1], s[16:17], 4
	v_lshlrev_b64 v[3:4], 4, v[4:5]
	s_add_u32 s2, s2, s0
	s_addc_u32 s3, s3, s1
	s_add_i32 s0, s15, s18
	s_add_i32 s1, s19, s11
	s_mul_i32 s0, s0, s14
	v_add_co_u32 v3, vcc_lo, s2, v3
	s_add_i32 s11, s1, s0
	v_add_co_ci_u32_e64 v4, null, s3, v4, vcc_lo
	s_lshl_b64 s[0:1], s[10:11], 3
	s_mov_b32 s2, 0
	s_add_u32 s0, s6, s0
	s_addc_u32 s1, s7, s1
	s_cmp_lg_u32 s12, 0
	s_cbranch_scc0 .LBB37_17
; %bb.14:
	v_mad_u64_u32 v[6:7], null, v0, s9, v[2:3]
	v_mov_b32_e32 v7, v5
	v_lshlrev_b64 v[5:6], 3, v[6:7]
	v_add_co_u32 v5, vcc_lo, s0, v5
	v_add_co_ci_u32_e64 v6, null, s1, v6, vcc_lo
	global_load_dwordx2 v[5:6], v[5:6], off
	s_waitcnt vmcnt(0)
	global_store_dwordx2 v[3:4], v[5:6], off offset:8
	s_andn2_b32 vcc_lo, exec_lo, s2
	s_cbranch_vccnz .LBB37_16
.LBB37_15:
	global_load_dwordx2 v[3:4], v[3:4], off offset:8
	s_waitcnt vmcnt(0)
	v_mad_u64_u32 v[0:1], null, v0, s9, v[2:3]
	v_mov_b32_e32 v1, 0
	v_lshlrev_b64 v[0:1], 3, v[0:1]
	v_add_co_u32 v0, vcc_lo, s0, v0
	v_add_co_ci_u32_e64 v1, null, s1, v1, vcc_lo
	global_store_dwordx2 v[0:1], v[3:4], off
.LBB37_16:
	s_endpgm
.LBB37_17:
	s_branch .LBB37_15
	.section	.rodata,"a",@progbits
	.p2align	6, 0x0
	.amdhsa_kernel _ZN9rocsolver6v33100L8copy_matI19rocblas_complex_numIdEdLb0EPS3_TnNSt9enable_ifIX18rocblas_is_complexIT_EEiE4typeELi0EEEvNS0_17copymat_directionEiiT2_iilPT0_13rocblas_fill_17rocblas_diagonal_
		.amdhsa_group_segment_fixed_size 0
		.amdhsa_private_segment_fixed_size 0
		.amdhsa_kernarg_size 312
		.amdhsa_user_sgpr_count 6
		.amdhsa_user_sgpr_private_segment_buffer 1
		.amdhsa_user_sgpr_dispatch_ptr 0
		.amdhsa_user_sgpr_queue_ptr 0
		.amdhsa_user_sgpr_kernarg_segment_ptr 1
		.amdhsa_user_sgpr_dispatch_id 0
		.amdhsa_user_sgpr_flat_scratch_init 0
		.amdhsa_user_sgpr_private_segment_size 0
		.amdhsa_wavefront_size32 1
		.amdhsa_uses_dynamic_stack 0
		.amdhsa_system_sgpr_private_segment_wavefront_offset 0
		.amdhsa_system_sgpr_workgroup_id_x 1
		.amdhsa_system_sgpr_workgroup_id_y 1
		.amdhsa_system_sgpr_workgroup_id_z 1
		.amdhsa_system_sgpr_workgroup_info 0
		.amdhsa_system_vgpr_workitem_id 1
		.amdhsa_next_free_vgpr 8
		.amdhsa_next_free_sgpr 20
		.amdhsa_reserve_vcc 1
		.amdhsa_reserve_flat_scratch 0
		.amdhsa_float_round_mode_32 0
		.amdhsa_float_round_mode_16_64 0
		.amdhsa_float_denorm_mode_32 3
		.amdhsa_float_denorm_mode_16_64 3
		.amdhsa_dx10_clamp 1
		.amdhsa_ieee_mode 1
		.amdhsa_fp16_overflow 0
		.amdhsa_workgroup_processor_mode 1
		.amdhsa_memory_ordered 1
		.amdhsa_forward_progress 1
		.amdhsa_shared_vgpr_count 0
		.amdhsa_exception_fp_ieee_invalid_op 0
		.amdhsa_exception_fp_denorm_src 0
		.amdhsa_exception_fp_ieee_div_zero 0
		.amdhsa_exception_fp_ieee_overflow 0
		.amdhsa_exception_fp_ieee_underflow 0
		.amdhsa_exception_fp_ieee_inexact 0
		.amdhsa_exception_int_div_zero 0
	.end_amdhsa_kernel
	.section	.text._ZN9rocsolver6v33100L8copy_matI19rocblas_complex_numIdEdLb0EPS3_TnNSt9enable_ifIX18rocblas_is_complexIT_EEiE4typeELi0EEEvNS0_17copymat_directionEiiT2_iilPT0_13rocblas_fill_17rocblas_diagonal_,"axG",@progbits,_ZN9rocsolver6v33100L8copy_matI19rocblas_complex_numIdEdLb0EPS3_TnNSt9enable_ifIX18rocblas_is_complexIT_EEiE4typeELi0EEEvNS0_17copymat_directionEiiT2_iilPT0_13rocblas_fill_17rocblas_diagonal_,comdat
.Lfunc_end37:
	.size	_ZN9rocsolver6v33100L8copy_matI19rocblas_complex_numIdEdLb0EPS3_TnNSt9enable_ifIX18rocblas_is_complexIT_EEiE4typeELi0EEEvNS0_17copymat_directionEiiT2_iilPT0_13rocblas_fill_17rocblas_diagonal_, .Lfunc_end37-_ZN9rocsolver6v33100L8copy_matI19rocblas_complex_numIdEdLb0EPS3_TnNSt9enable_ifIX18rocblas_is_complexIT_EEiE4typeELi0EEEvNS0_17copymat_directionEiiT2_iilPT0_13rocblas_fill_17rocblas_diagonal_
                                        ; -- End function
	.set _ZN9rocsolver6v33100L8copy_matI19rocblas_complex_numIdEdLb0EPS3_TnNSt9enable_ifIX18rocblas_is_complexIT_EEiE4typeELi0EEEvNS0_17copymat_directionEiiT2_iilPT0_13rocblas_fill_17rocblas_diagonal_.num_vgpr, 8
	.set _ZN9rocsolver6v33100L8copy_matI19rocblas_complex_numIdEdLb0EPS3_TnNSt9enable_ifIX18rocblas_is_complexIT_EEiE4typeELi0EEEvNS0_17copymat_directionEiiT2_iilPT0_13rocblas_fill_17rocblas_diagonal_.num_agpr, 0
	.set _ZN9rocsolver6v33100L8copy_matI19rocblas_complex_numIdEdLb0EPS3_TnNSt9enable_ifIX18rocblas_is_complexIT_EEiE4typeELi0EEEvNS0_17copymat_directionEiiT2_iilPT0_13rocblas_fill_17rocblas_diagonal_.numbered_sgpr, 20
	.set _ZN9rocsolver6v33100L8copy_matI19rocblas_complex_numIdEdLb0EPS3_TnNSt9enable_ifIX18rocblas_is_complexIT_EEiE4typeELi0EEEvNS0_17copymat_directionEiiT2_iilPT0_13rocblas_fill_17rocblas_diagonal_.num_named_barrier, 0
	.set _ZN9rocsolver6v33100L8copy_matI19rocblas_complex_numIdEdLb0EPS3_TnNSt9enable_ifIX18rocblas_is_complexIT_EEiE4typeELi0EEEvNS0_17copymat_directionEiiT2_iilPT0_13rocblas_fill_17rocblas_diagonal_.private_seg_size, 0
	.set _ZN9rocsolver6v33100L8copy_matI19rocblas_complex_numIdEdLb0EPS3_TnNSt9enable_ifIX18rocblas_is_complexIT_EEiE4typeELi0EEEvNS0_17copymat_directionEiiT2_iilPT0_13rocblas_fill_17rocblas_diagonal_.uses_vcc, 1
	.set _ZN9rocsolver6v33100L8copy_matI19rocblas_complex_numIdEdLb0EPS3_TnNSt9enable_ifIX18rocblas_is_complexIT_EEiE4typeELi0EEEvNS0_17copymat_directionEiiT2_iilPT0_13rocblas_fill_17rocblas_diagonal_.uses_flat_scratch, 0
	.set _ZN9rocsolver6v33100L8copy_matI19rocblas_complex_numIdEdLb0EPS3_TnNSt9enable_ifIX18rocblas_is_complexIT_EEiE4typeELi0EEEvNS0_17copymat_directionEiiT2_iilPT0_13rocblas_fill_17rocblas_diagonal_.has_dyn_sized_stack, 0
	.set _ZN9rocsolver6v33100L8copy_matI19rocblas_complex_numIdEdLb0EPS3_TnNSt9enable_ifIX18rocblas_is_complexIT_EEiE4typeELi0EEEvNS0_17copymat_directionEiiT2_iilPT0_13rocblas_fill_17rocblas_diagonal_.has_recursion, 0
	.set _ZN9rocsolver6v33100L8copy_matI19rocblas_complex_numIdEdLb0EPS3_TnNSt9enable_ifIX18rocblas_is_complexIT_EEiE4typeELi0EEEvNS0_17copymat_directionEiiT2_iilPT0_13rocblas_fill_17rocblas_diagonal_.has_indirect_call, 0
	.section	.AMDGPU.csdata,"",@progbits
; Kernel info:
; codeLenInByte = 572
; TotalNumSgprs: 22
; NumVgprs: 8
; ScratchSize: 0
; MemoryBound: 0
; FloatMode: 240
; IeeeMode: 1
; LDSByteSize: 0 bytes/workgroup (compile time only)
; SGPRBlocks: 0
; VGPRBlocks: 0
; NumSGPRsForWavesPerEU: 22
; NumVGPRsForWavesPerEU: 8
; Occupancy: 16
; WaveLimiterHint : 0
; COMPUTE_PGM_RSRC2:SCRATCH_EN: 0
; COMPUTE_PGM_RSRC2:USER_SGPR: 6
; COMPUTE_PGM_RSRC2:TRAP_HANDLER: 0
; COMPUTE_PGM_RSRC2:TGID_X_EN: 1
; COMPUTE_PGM_RSRC2:TGID_Y_EN: 1
; COMPUTE_PGM_RSRC2:TGID_Z_EN: 1
; COMPUTE_PGM_RSRC2:TIDIG_COMP_CNT: 1
	.section	.text._ZN9rocsolver6v33100L11stedcx_sortI19rocblas_complex_numIdEdPS3_EEviPT0_lT1_iiliPiS8_,"axG",@progbits,_ZN9rocsolver6v33100L11stedcx_sortI19rocblas_complex_numIdEdPS3_EEviPT0_lT1_iiliPiS8_,comdat
	.globl	_ZN9rocsolver6v33100L11stedcx_sortI19rocblas_complex_numIdEdPS3_EEviPT0_lT1_iiliPiS8_ ; -- Begin function _ZN9rocsolver6v33100L11stedcx_sortI19rocblas_complex_numIdEdPS3_EEviPT0_lT1_iiliPiS8_
	.p2align	8
	.type	_ZN9rocsolver6v33100L11stedcx_sortI19rocblas_complex_numIdEdPS3_EEviPT0_lT1_iiliPiS8_,@function
_ZN9rocsolver6v33100L11stedcx_sortI19rocblas_complex_numIdEdPS3_EEviPT0_lT1_iiliPiS8_: ; @_ZN9rocsolver6v33100L11stedcx_sortI19rocblas_complex_numIdEdPS3_EEviPT0_lT1_iiliPiS8_
; %bb.0:
	s_add_u32 s8, s8, s12
	s_mov_b32 s32, 0
	s_addc_u32 s9, s9, 0
	s_setreg_b32 hwreg(HW_REG_FLAT_SCR_LO), s8
	s_setreg_b32 hwreg(HW_REG_FLAT_SCR_HI), s9
	s_load_dword s33, s[6:7], 0x30
	s_add_u32 s0, s0, s12
	s_addc_u32 s1, s1, 0
	s_waitcnt lgkmcnt(0)
	s_cmp_ge_i32 s11, s33
	s_cbranch_scc1 .LBB38_70
; %bb.1:
	s_mov_b32 s20, s11
	s_load_dwordx2 s[4:5], s[4:5], 0x4
	s_clause 0x4
	s_load_dword s34, s[6:7], 0x0
	s_load_dwordx8 s[12:19], s[6:7], 0x8
	s_load_dwordx4 s[8:11], s[6:7], 0x38
	s_load_dwordx2 s[22:23], s[6:7], 0x28
	s_load_dword s35, s[6:7], 0x50
	v_or3_b32 v3, v1, v2, v0
	v_mov_b32_e32 v4, 0
	s_mov_b32 s25, 0
	s_mov_b32 s47, 0
                                        ; implicit-def: $sgpr48
                                        ; implicit-def: $sgpr44
                                        ; implicit-def: $sgpr49
                                        ; implicit-def: $sgpr50
	s_waitcnt lgkmcnt(0)
	s_lshr_b32 s4, s4, 16
	s_mul_hi_i32 s29, s34, s20
	s_mul_i32 s28, s34, s20
	s_add_u32 s26, s6, 0x48
	s_addc_u32 s27, s7, 0
	s_lshl_b64 s[28:29], s[28:29], 2
	s_mov_b32 s30, s18
	s_add_u32 s36, s8, s28
	s_addc_u32 s37, s9, s29
	s_cmp_lg_u64 s[16:17], 0
	s_mul_i32 s4, s4, s5
	s_cselect_b32 s38, -1, 0
	s_ashr_i32 s31, s18, 31
	v_mul_lo_u32 v5, s4, v0
	s_lshl_b64 s[28:29], s[30:31], 4
	v_cmp_eq_u32_e64 s4, 0, v3
	s_add_u32 s39, s16, s28
	s_addc_u32 s40, s17, s29
	s_cmp_lg_u64 s[10:11], 0
	s_mov_b32 s45, s19
	s_cselect_b32 s41, -1, 0
	s_cmp_eq_u64 s[12:13], 0
	v_mad_u32_u24 v3, v1, s5, v5
	s_cselect_b32 s42, -1, 0
	s_cmp_lg_u64 s[8:9], 0
	s_cselect_b32 s43, -1, 0
	s_min_i32 s5, s34, s19
	v_add_lshl_u32 v9, v3, v2, 4
	s_cmp_gt_i32 s5, 0
	s_cselect_b32 s5, -1, 0
	s_and_b32 s46, s5, s43
	s_branch .LBB38_4
.LBB38_2:                               ;   in Loop: Header=BB38_4 Depth=1
	s_or_b32 exec_lo, exec_lo, s8
	s_andn2_b32 s5, s50, exec_lo
	s_and_b32 s8, s16, exec_lo
	s_andn2_b32 s49, s49, exec_lo
	s_or_b32 s50, s5, s8
	s_orn2_b32 s31, s21, exec_lo
.LBB38_3:                               ;   in Loop: Header=BB38_4 Depth=1
	s_or_b32 exec_lo, exec_lo, s9
	s_and_b32 s5, exec_lo, s31
	s_or_b32 s47, s5, s47
	s_andn2_b32 s5, s44, exec_lo
	s_and_b32 s8, s50, exec_lo
	s_andn2_b32 s9, s48, exec_lo
	s_and_b32 s16, s49, exec_lo
	s_or_b32 s44, s5, s8
	s_or_b32 s48, s9, s16
	s_andn2_b32 exec_lo, exec_lo, s47
	s_cbranch_execz .LBB38_66
.LBB38_4:                               ; =>This Loop Header: Depth=1
                                        ;     Child Loop BB38_11 Depth 2
                                        ;     Child Loop BB38_15 Depth 2
                                        ;       Child Loop BB38_18 Depth 3
                                        ;         Child Loop BB38_22 Depth 4
                                        ;     Child Loop BB38_33 Depth 2
                                        ;     Child Loop BB38_47 Depth 2
                                        ;       Child Loop BB38_49 Depth 3
                                        ;         Child Loop BB38_54 Depth 4
                                        ;     Child Loop BB38_58 Depth 2
	s_ashr_i32 s21, s20, 31
	s_andn2_b32 vcc_lo, exec_lo, s38
	s_mov_b64 s[16:17], 0
	s_cbranch_vccnz .LBB38_6
; %bb.5:                                ;   in Loop: Header=BB38_4 Depth=1
	s_mul_i32 s5, s22, s21
	s_mul_hi_u32 s8, s22, s20
	s_mul_i32 s9, s23, s20
	s_add_i32 s5, s8, s5
	s_mul_i32 s8, s22, s20
	s_add_i32 s9, s5, s9
	s_lshl_b64 s[8:9], s[8:9], 4
	s_add_u32 s16, s39, s8
	s_addc_u32 s17, s40, s9
.LBB38_6:                               ;   in Loop: Header=BB38_4 Depth=1
	s_andn2_b32 vcc_lo, exec_lo, s41
	s_mov_b32 s30, s34
	s_cbranch_vccnz .LBB38_8
; %bb.7:                                ;   in Loop: Header=BB38_4 Depth=1
	s_lshl_b64 s[8:9], s[20:21], 2
	s_add_u32 s8, s10, s8
	s_addc_u32 s9, s11, s9
	global_load_dword v3, v4, s[8:9]
	s_waitcnt vmcnt(0)
	v_readfirstlane_b32 s30, v3
.LBB38_8:                               ;   in Loop: Header=BB38_4 Depth=1
	s_cmp_lt_i32 s30, 1
	s_mov_b32 s31, -1
	s_cselect_b32 s5, -1, 0
	s_or_b32 s5, s42, s5
	s_barrier
	s_and_b32 vcc_lo, exec_lo, s5
	s_mov_b32 s5, -1
	buffer_gl0_inv
	s_cbranch_vccnz .LBB38_42
; %bb.9:                                ;   in Loop: Header=BB38_4 Depth=1
	s_load_dwordx2 s[8:9], s[26:27], 0xc
	s_waitcnt lgkmcnt(0)
	s_barrier
	buffer_gl0_inv
	s_lshr_b32 s5, s8, 16
	s_and_b32 s8, s8, 0xffff
	s_mul_i32 s51, s5, s8
	v_mul_u32_u24_e32 v5, s8, v1
	v_mul_lo_u32 v3, s51, v2
	s_and_b32 s5, s9, 0xffff
	s_mul_i32 s51, s51, s5
	v_add3_u32 v10, v5, v0, v3
	v_cmp_gt_u32_e32 vcc_lo, s30, v10
	s_and_b32 s8, s43, vcc_lo
	s_and_saveexec_b32 s5, s8
	s_cbranch_execz .LBB38_12
; %bb.10:                               ;   in Loop: Header=BB38_4 Depth=1
	v_mov_b32_e32 v3, v10
	s_mov_b32 s8, 0
.LBB38_11:                              ;   Parent Loop BB38_4 Depth=1
                                        ; =>  This Inner Loop Header: Depth=2
	v_lshlrev_b64 v[5:6], 2, v[3:4]
	v_add_co_u32 v5, vcc_lo, s36, v5
	v_add_co_ci_u32_e64 v6, null, s37, v6, vcc_lo
	global_store_dword v[5:6], v3, off
	v_add_nc_u32_e32 v3, s51, v3
	v_cmp_le_u32_e32 vcc_lo, s30, v3
	s_or_b32 s8, vcc_lo, s8
	s_andn2_b32 exec_lo, exec_lo, s8
	s_cbranch_execnz .LBB38_11
.LBB38_12:                              ;   in Loop: Header=BB38_4 Depth=1
	s_or_b32 exec_lo, exec_lo, s5
	s_mul_i32 s5, s14, s21
	s_mul_hi_u32 s8, s14, s20
	s_mul_i32 s9, s15, s20
	s_add_i32 s5, s8, s5
	s_mul_i32 s8, s14, s20
	s_add_i32 s9, s5, s9
	s_waitcnt_vscnt null, 0x0
	s_lshl_b64 s[8:9], s[8:9], 3
	s_barrier
	s_add_u32 s21, s12, s8
	s_addc_u32 s52, s13, s9
	buffer_gl0_inv
	s_and_saveexec_b32 s5, s4
	s_cbranch_execz .LBB38_29
; %bb.13:                               ;   in Loop: Header=BB38_4 Depth=1
	s_mov_b32 s8, 0
	s_branch .LBB38_15
.LBB38_14:                              ;   in Loop: Header=BB38_15 Depth=2
	s_add_i32 s8, s8, 1
	s_cmp_eq_u32 s8, 8
	s_cbranch_scc1 .LBB38_29
.LBB38_15:                              ;   Parent Loop BB38_4 Depth=1
                                        ; =>  This Loop Header: Depth=2
                                        ;       Child Loop BB38_18 Depth 3
                                        ;         Child Loop BB38_22 Depth 4
	s_mov_b32 s9, s25
	s_getpc_b64 s[18:19]
	s_add_u32 s18, s18, __const._ZN9rocsolver6v33100L20shell_sort_ascendingIdiEEvT0_PT_PS2_.gaps@rel32@lo+4
	s_addc_u32 s19, s19, __const._ZN9rocsolver6v33100L20shell_sort_ascendingIdiEEvT0_PT_PS2_.gaps@rel32@hi+12
	s_lshl_b64 s[28:29], s[8:9], 2
	s_add_u32 s18, s18, s28
	s_addc_u32 s19, s19, s29
	s_load_dword s9, s[18:19], 0x0
	s_waitcnt lgkmcnt(0)
	s_cmp_ge_i32 s9, s30
	s_cbranch_scc1 .LBB38_14
; %bb.16:                               ;   in Loop: Header=BB38_15 Depth=2
	s_mov_b32 s53, 0
	s_mov_b32 s18, s9
	s_branch .LBB38_18
.LBB38_17:                              ;   in Loop: Header=BB38_18 Depth=3
	s_add_i32 s18, s18, 1
	s_add_i32 s53, s53, 1
	s_cmp_ge_i32 s18, s30
	s_cbranch_scc1 .LBB38_14
.LBB38_18:                              ;   Parent Loop BB38_4 Depth=1
                                        ;     Parent Loop BB38_15 Depth=2
                                        ; =>    This Loop Header: Depth=3
                                        ;         Child Loop BB38_22 Depth 4
	s_ashr_i32 s19, s18, 31
	s_lshl_b64 s[28:29], s[18:19], 3
	s_add_u32 s28, s21, s28
	s_addc_u32 s29, s52, s29
	s_andn2_b32 vcc_lo, exec_lo, s43
	global_load_dwordx2 v[5:6], v4, s[28:29]
	s_cbranch_vccnz .LBB38_20
; %bb.19:                               ;   in Loop: Header=BB38_18 Depth=3
	s_lshl_b64 s[28:29], s[18:19], 2
	s_add_u32 s28, s36, s28
	s_addc_u32 s29, s37, s29
	global_load_dword v3, v4, s[28:29]
	s_cmp_lt_i32 s18, s9
	s_mov_b64 s[28:29], s[18:19]
	s_mov_b32 s24, s53
	s_cbranch_scc0 .LBB38_22
	s_branch .LBB38_27
.LBB38_20:                              ;   in Loop: Header=BB38_18 Depth=3
	v_mov_b32_e32 v3, 0
	s_cmp_lt_i32 s18, s9
	s_mov_b64 s[28:29], s[18:19]
	s_mov_b32 s24, s53
	s_cbranch_scc0 .LBB38_22
	s_branch .LBB38_27
	.p2align	6
.LBB38_21:                              ;   in Loop: Header=BB38_22 Depth=4
                                        ; implicit-def: $sgpr19
	s_and_b32 vcc_lo, exec_lo, s29
	s_mov_b32 s24, s19
	s_cbranch_vccnz .LBB38_26
.LBB38_22:                              ;   Parent Loop BB38_4 Depth=1
                                        ;     Parent Loop BB38_15 Depth=2
                                        ;       Parent Loop BB38_18 Depth=3
                                        ; =>      This Inner Loop Header: Depth=4
	s_lshl_b64 s[54:55], s[24:25], 3
	s_add_i32 s28, s9, s24
	s_add_u32 s54, s21, s54
	s_addc_u32 s55, s52, s55
	s_mov_b32 s29, -1
	global_load_dwordx2 v[7:8], v4, s[54:55]
	s_waitcnt vmcnt(0)
	v_cmp_ngt_f64_e32 vcc_lo, v[7:8], v[5:6]
	s_cbranch_vccnz .LBB38_21
; %bb.23:                               ;   in Loop: Header=BB38_22 Depth=4
	s_ashr_i32 s29, s28, 31
	s_lshl_b64 s[54:55], s[28:29], 3
	s_add_u32 s54, s21, s54
	s_addc_u32 s55, s52, s55
	s_andn2_b32 vcc_lo, exec_lo, s43
	global_store_dwordx2 v4, v[7:8], s[54:55]
	s_cbranch_vccnz .LBB38_25
; %bb.24:                               ;   in Loop: Header=BB38_22 Depth=4
	s_lshl_b64 s[28:29], s[28:29], 2
	s_add_u32 s28, s36, s28
	s_addc_u32 s29, s37, s29
	s_lshl_b64 s[54:55], s[24:25], 2
	s_add_u32 s54, s36, s54
	s_addc_u32 s55, s37, s55
	global_load_dword v7, v4, s[54:55]
	s_waitcnt vmcnt(0)
	global_store_dword v4, v7, s[28:29]
.LBB38_25:                              ;   in Loop: Header=BB38_22 Depth=4
	s_sub_i32 s19, s24, s9
	s_cmp_lt_i32 s24, s9
	s_mov_b32 s28, s24
	s_cselect_b32 s29, -1, 0
	s_and_b32 vcc_lo, exec_lo, s29
	s_mov_b32 s24, s19
	s_cbranch_vccz .LBB38_22
.LBB38_26:                              ;   in Loop: Header=BB38_18 Depth=3
	s_ashr_i32 s29, s28, 31
.LBB38_27:                              ;   in Loop: Header=BB38_18 Depth=3
	s_lshl_b64 s[54:55], s[28:29], 3
	s_add_u32 s54, s21, s54
	s_addc_u32 s55, s52, s55
	s_andn2_b32 vcc_lo, exec_lo, s43
	s_waitcnt vmcnt(0)
	global_store_dwordx2 v4, v[5:6], s[54:55]
	s_cbranch_vccnz .LBB38_17
; %bb.28:                               ;   in Loop: Header=BB38_18 Depth=3
	s_lshl_b64 s[28:29], s[28:29], 2
	s_add_u32 s28, s36, s28
	s_addc_u32 s29, s37, s29
	global_store_dword v4, v3, s[28:29]
	s_branch .LBB38_17
.LBB38_29:                              ;   in Loop: Header=BB38_4 Depth=1
	s_or_b32 exec_lo, exec_lo, s5
	s_cmp_lt_u32 s30, 2
	s_waitcnt_vscnt null, 0x0
	s_cselect_b32 s18, -1, 0
	s_barrier
	s_and_b32 vcc_lo, exec_lo, s18
	buffer_gl0_inv
	s_cbranch_vccnz .LBB38_39
; %bb.30:                               ;   in Loop: Header=BB38_4 Depth=1
	s_add_i32 s9, s30, -1
	s_mov_b32 s18, -1
	s_mov_b32 s8, exec_lo
	v_cmpx_gt_u32_e64 s9, v10
	s_cbranch_execz .LBB38_38
; %bb.31:                               ;   in Loop: Header=BB38_4 Depth=1
	v_mov_b32_e32 v3, v10
	s_mov_b32 s18, 0
                                        ; implicit-def: $sgpr19
	s_inst_prefetch 0x1
	s_branch .LBB38_33
	.p2align	6
.LBB38_32:                              ;   in Loop: Header=BB38_33 Depth=2
	s_or_b32 exec_lo, exec_lo, s29
	s_xor_b32 s24, s28, -1
	s_and_b32 s5, exec_lo, s5
	s_or_b32 s18, s5, s18
	s_andn2_b32 s5, s19, exec_lo
	s_and_b32 s19, s24, exec_lo
	s_or_b32 s19, s5, s19
	s_andn2_b32 exec_lo, exec_lo, s18
	s_cbranch_execz .LBB38_37
.LBB38_33:                              ;   Parent Loop BB38_4 Depth=1
                                        ; =>  This Inner Loop Header: Depth=2
	v_lshlrev_b64 v[5:6], 3, v[3:4]
	s_mov_b32 s28, exec_lo
	v_add_co_u32 v5, vcc_lo, s21, v5
	v_add_co_ci_u32_e64 v6, null, s52, v6, vcc_lo
	global_load_dwordx2 v[7:8], v[5:6], off
	s_waitcnt vmcnt(0)
	v_cmp_u_f64_e64 s24, v[7:8], v[7:8]
	v_cmpx_o_f64_e32 v[7:8], v[7:8]
	s_cbranch_execz .LBB38_35
; %bb.34:                               ;   in Loop: Header=BB38_33 Depth=2
	global_load_dwordx2 v[5:6], v[5:6], off offset:8
	s_andn2_b32 s24, s24, exec_lo
	s_waitcnt vmcnt(0)
	v_cmp_u_f64_e32 vcc_lo, v[5:6], v[5:6]
	v_cmp_le_f64_e64 s5, v[7:8], v[5:6]
	s_or_b32 s5, vcc_lo, s5
	s_and_b32 s5, s5, exec_lo
	s_or_b32 s24, s24, s5
.LBB38_35:                              ;   in Loop: Header=BB38_33 Depth=2
	s_or_b32 exec_lo, exec_lo, s28
	s_mov_b32 s5, -1
	s_mov_b32 s28, -1
	s_and_saveexec_b32 s29, s24
	s_cbranch_execz .LBB38_32
; %bb.36:                               ;   in Loop: Header=BB38_33 Depth=2
	v_add_nc_u32_e32 v3, s51, v3
	s_xor_b32 s28, exec_lo, -1
	v_cmp_le_u32_e32 vcc_lo, s9, v3
	s_orn2_b32 s5, vcc_lo, exec_lo
	s_branch .LBB38_32
.LBB38_37:                              ;   in Loop: Header=BB38_4 Depth=1
	s_inst_prefetch 0x2
	s_or_b32 exec_lo, exec_lo, s18
	s_orn2_b32 s18, s19, exec_lo
.LBB38_38:                              ;   in Loop: Header=BB38_4 Depth=1
	s_or_b32 exec_lo, exec_lo, s8
.LBB38_39:                              ;   in Loop: Header=BB38_4 Depth=1
	s_mov_b32 s5, 0
	s_and_saveexec_b32 s8, s18
	s_cbranch_execz .LBB38_41
; %bb.40:                               ;   in Loop: Header=BB38_4 Depth=1
	s_mov_b32 s5, exec_lo
	s_barrier
	buffer_gl0_inv
.LBB38_41:                              ;   in Loop: Header=BB38_4 Depth=1
	s_or_b32 exec_lo, exec_lo, s8
.LBB38_42:                              ;   in Loop: Header=BB38_4 Depth=1
	s_andn2_b32 s50, s50, exec_lo
	s_or_b32 s49, s49, exec_lo
	s_and_saveexec_b32 s9, s5
	s_cbranch_execz .LBB38_3
; %bb.43:                               ;   in Loop: Header=BB38_4 Depth=1
	s_cmp_lg_u64 s[16:17], 0
	s_mov_b32 s21, -1
	s_cselect_b32 s5, -1, 0
	s_and_b32 s5, s5, s46
	s_barrier
	s_and_b32 vcc_lo, exec_lo, s5
	s_mov_b32 s5, -1
	buffer_gl0_inv
	s_cbranch_vccz .LBB38_64
; %bb.44:                               ;   in Loop: Header=BB38_4 Depth=1
	s_load_dwordx2 s[18:19], s[26:27], 0xc
	s_waitcnt lgkmcnt(0)
	s_lshr_b32 s5, s18, 16
	s_and_b32 s8, s18, 0xffff
	s_mul_i32 s52, s5, s8
	v_mul_u32_u24_e32 v5, s8, v1
	v_mul_lo_u32 v3, s52, v2
	s_and_b32 s5, s19, 0xffff
	s_cmp_lt_i32 s30, 0
	s_mul_i32 s52, s52, s5
	s_cselect_b32 s51, s34, s30
	s_cmp_eq_u32 s51, 0
	v_add3_u32 v5, v5, v0, v3
	s_cbranch_scc1 .LBB38_55
; %bb.45:                               ;   in Loop: Header=BB38_4 Depth=1
	v_cmp_eq_u32_e64 s5, 0, v5
	v_cmp_gt_u32_e64 s8, s34, v5
	s_mov_b32 s24, 0
	s_branch .LBB38_47
.LBB38_46:                              ;   in Loop: Header=BB38_47 Depth=2
	s_add_i32 s24, s24, 1
	s_cmp_eq_u32 s24, s51
	s_cbranch_scc1 .LBB38_55
.LBB38_47:                              ;   Parent Loop BB38_4 Depth=1
                                        ; =>  This Loop Header: Depth=2
                                        ;       Child Loop BB38_49 Depth 3
                                        ;         Child Loop BB38_54 Depth 4
	s_lshl_b64 s[18:19], s[24:25], 2
	s_add_u32 s18, s36, s18
	s_addc_u32 s19, s37, s19
	s_barrier
	s_branch .LBB38_49
.LBB38_48:                              ;   in Loop: Header=BB38_49 Depth=3
	s_or_b32 exec_lo, exec_lo, s30
	s_waitcnt lgkmcnt(0)
	s_waitcnt_vscnt null, 0x0
	s_barrier
.LBB38_49:                              ;   Parent Loop BB38_4 Depth=1
                                        ;     Parent Loop BB38_47 Depth=2
                                        ; =>    This Loop Header: Depth=3
                                        ;         Child Loop BB38_54 Depth 4
	buffer_gl0_inv
	global_load_dword v3, v4, s[18:19]
	s_waitcnt vmcnt(0)
	v_cmp_eq_u32_e32 vcc_lo, s24, v3
	v_readfirstlane_b32 s28, v3
	s_cbranch_vccnz .LBB38_46
; %bb.50:                               ;   in Loop: Header=BB38_49 Depth=3
	s_ashr_i32 s29, s28, 31
	s_lshl_b64 s[30:31], s[28:29], 2
	s_add_u32 s30, s36, s30
	s_addc_u32 s31, s37, s31
	global_load_dword v3, v4, s[30:31]
	s_waitcnt vmcnt(0)
	s_barrier
	buffer_gl0_inv
	v_readfirstlane_b32 s53, v3
	s_and_saveexec_b32 s54, s5
	s_cbranch_execz .LBB38_52
; %bb.51:                               ;   in Loop: Header=BB38_49 Depth=3
	v_mov_b32_e32 v3, s28
	v_mov_b32_e32 v6, s53
	global_store_dword v4, v3, s[30:31]
	global_store_dword v4, v6, s[18:19]
.LBB38_52:                              ;   in Loop: Header=BB38_49 Depth=3
	s_or_b32 exec_lo, exec_lo, s54
	s_waitcnt_vscnt null, 0x0
	s_barrier
	buffer_gl0_inv
	s_and_saveexec_b32 s30, s8
	s_cbranch_execz .LBB38_48
; %bb.53:                               ;   in Loop: Header=BB38_49 Depth=3
	s_mul_i32 s29, s29, s45
	s_mul_hi_u32 s31, s28, s45
	s_mul_i32 s28, s28, s45
	s_add_i32 s29, s31, s29
	s_ashr_i32 s31, s53, 31
	s_mul_hi_u32 s54, s53, s45
	s_mul_i32 s31, s31, s45
	s_lshl_b64 s[28:29], s[28:29], 4
	s_add_i32 s55, s54, s31
	s_mul_i32 s54, s53, s45
	s_add_u32 s28, s16, s28
	s_addc_u32 s29, s17, s29
	s_lshl_b64 s[54:55], s[54:55], 4
	v_mov_b32_e32 v3, v5
	s_add_u32 s31, s16, s54
	s_addc_u32 s53, s17, s55
	s_mov_b32 s54, 0
	.p2align	6
.LBB38_54:                              ;   Parent Loop BB38_4 Depth=1
                                        ;     Parent Loop BB38_47 Depth=2
                                        ;       Parent Loop BB38_49 Depth=3
                                        ; =>      This Inner Loop Header: Depth=4
	v_lshlrev_b64 v[6:7], 4, v[3:4]
	v_add_nc_u32_e32 v3, s52, v3
	v_add_co_u32 v18, vcc_lo, s28, v6
	v_add_co_ci_u32_e64 v19, null, s29, v7, vcc_lo
	v_add_co_u32 v6, vcc_lo, s31, v6
	v_add_co_ci_u32_e64 v7, null, s53, v7, vcc_lo
	s_clause 0x1
	global_load_dwordx4 v[10:13], v[18:19], off
	global_load_dwordx4 v[14:17], v[6:7], off
	v_cmp_le_u32_e32 vcc_lo, s34, v3
	s_or_b32 s54, vcc_lo, s54
	s_waitcnt vmcnt(1)
	ds_write2_b64 v9, v[10:11], v[12:13] offset1:1
	s_waitcnt vmcnt(0)
	global_store_dwordx4 v[18:19], v[14:17], off
	global_store_dwordx4 v[6:7], v[10:13], off
	s_andn2_b32 exec_lo, exec_lo, s54
	s_cbranch_execnz .LBB38_54
	s_branch .LBB38_48
.LBB38_55:                              ;   in Loop: Header=BB38_4 Depth=1
	s_mov_b32 s8, -1
	s_mov_b32 s5, exec_lo
	s_barrier
	buffer_gl0_inv
	v_cmpx_gt_u32_e64 s51, v5
	s_cbranch_execz .LBB38_61
; %bb.56:                               ;   in Loop: Header=BB38_4 Depth=1
	v_mov_b32_e32 v3, v5
	s_mov_b32 s8, 0
                                        ; implicit-def: $sgpr16
                                        ; implicit-def: $sgpr18
                                        ; implicit-def: $sgpr17
	s_inst_prefetch 0x1
	s_branch .LBB38_58
	.p2align	6
.LBB38_57:                              ;   in Loop: Header=BB38_58 Depth=2
	s_or_b32 exec_lo, exec_lo, s19
	s_xor_b32 s19, s17, -1
	s_and_b32 s24, exec_lo, s18
	s_or_b32 s8, s24, s8
	s_andn2_b32 s16, s16, exec_lo
	s_and_b32 s19, s19, exec_lo
	s_or_b32 s16, s16, s19
	s_andn2_b32 exec_lo, exec_lo, s8
	s_cbranch_execz .LBB38_60
.LBB38_58:                              ;   Parent Loop BB38_4 Depth=1
                                        ; =>  This Inner Loop Header: Depth=2
	v_lshlrev_b64 v[5:6], 2, v[3:4]
	s_or_b32 s17, s17, exec_lo
	s_or_b32 s18, s18, exec_lo
	s_mov_b32 s19, exec_lo
	v_add_co_u32 v5, vcc_lo, s36, v5
	v_add_co_ci_u32_e64 v6, null, s37, v6, vcc_lo
	global_load_dword v5, v[5:6], off
	s_waitcnt vmcnt(0)
	v_cmpx_eq_u32_e64 v3, v5
	s_cbranch_execz .LBB38_57
; %bb.59:                               ;   in Loop: Header=BB38_58 Depth=2
	v_add_nc_u32_e32 v3, s52, v3
	s_andn2_b32 s18, s18, exec_lo
	s_andn2_b32 s17, s17, exec_lo
	v_cmp_le_u32_e32 vcc_lo, s51, v3
	s_and_b32 s24, vcc_lo, exec_lo
	s_or_b32 s18, s18, s24
	s_branch .LBB38_57
.LBB38_60:                              ;   in Loop: Header=BB38_4 Depth=1
	s_inst_prefetch 0x2
	s_or_b32 exec_lo, exec_lo, s8
	s_orn2_b32 s8, s16, exec_lo
.LBB38_61:                              ;   in Loop: Header=BB38_4 Depth=1
	s_or_b32 exec_lo, exec_lo, s5
	s_mov_b32 s5, 0
	s_and_saveexec_b32 s16, s8
	s_cbranch_execz .LBB38_63
; %bb.62:                               ;   in Loop: Header=BB38_4 Depth=1
	s_mov_b32 s5, exec_lo
	s_barrier
	buffer_gl0_inv
.LBB38_63:                              ;   in Loop: Header=BB38_4 Depth=1
	s_or_b32 exec_lo, exec_lo, s16
.LBB38_64:                              ;   in Loop: Header=BB38_4 Depth=1
	s_mov_b32 s16, -1
	s_and_saveexec_b32 s8, s5
	s_cbranch_execz .LBB38_2
; %bb.65:                               ;   in Loop: Header=BB38_4 Depth=1
	s_add_i32 s20, s20, s35
	s_cmp_ge_i32 s20, s33
	s_barrier
	s_cselect_b32 s5, -1, 0
	s_xor_b32 s16, exec_lo, -1
	s_orn2_b32 s21, s5, exec_lo
	buffer_gl0_inv
	s_branch .LBB38_2
.LBB38_66:
	s_or_b32 exec_lo, exec_lo, s47
	s_xor_b32 s4, s48, -1
	s_mov_b32 s25, 0
	s_and_saveexec_b32 s5, s4
	s_xor_b32 s28, exec_lo, s5
	s_cbranch_execnz .LBB38_71
; %bb.67:
	s_andn2_saveexec_b32 s26, s28
	s_cbranch_execnz .LBB38_74
.LBB38_68:
	s_or_b32 exec_lo, exec_lo, s26
	s_and_saveexec_b32 s4, s25
.LBB38_69:
	; divergent unreachable
.LBB38_70:
	s_endpgm
.LBB38_71:
	s_mov_b32 s4, 0
	s_and_saveexec_b32 s5, s44
	s_xor_b32 s25, exec_lo, s5
	s_cbranch_execz .LBB38_73
; %bb.72:
	s_add_u32 s8, s6, 0x48
	s_addc_u32 s9, s7, 0
	s_getpc_b64 s[4:5]
	s_add_u32 s4, s4, .str.8@rel32@lo+4
	s_addc_u32 s5, s5, .str.8@rel32@hi+12
	s_getpc_b64 s[10:11]
	s_add_u32 s10, s10, __PRETTY_FUNCTION__._ZN9rocsolver6v33100L12permute_swapI19rocblas_complex_numIdEiEEvT0_PT_S4_PS4_S4_@rel32@lo+4
	s_addc_u32 s11, s11, __PRETTY_FUNCTION__._ZN9rocsolver6v33100L12permute_swapI19rocblas_complex_numIdEiEEvT0_PT_S4_PS4_S4_@rel32@hi+12
	v_mov_b32_e32 v0, s4
	v_mov_b32_e32 v1, s5
	;; [unrolled: 1-line block ×5, first 2 shown]
	s_getpc_b64 s[12:13]
	s_add_u32 s12, s12, __assert_fail@rel32@lo+4
	s_addc_u32 s13, s13, __assert_fail@rel32@hi+12
	s_mov_b64 s[26:27], s[6:7]
	s_swappc_b64 s[30:31], s[12:13]
	s_mov_b64 s[6:7], s[26:27]
	s_mov_b32 s4, exec_lo
.LBB38_73:
	s_or_b32 exec_lo, exec_lo, s25
	s_and_b32 s25, s4, exec_lo
	s_andn2_saveexec_b32 s26, s28
	s_cbranch_execz .LBB38_68
.LBB38_74:
	s_add_u32 s8, s6, 0x48
	s_addc_u32 s9, s7, 0
	s_getpc_b64 s[4:5]
	s_add_u32 s4, s4, .str.5@rel32@lo+4
	s_addc_u32 s5, s5, .str.5@rel32@hi+12
	s_getpc_b64 s[6:7]
	s_add_u32 s6, s6, __PRETTY_FUNCTION__._ZN9rocsolver6v33100L20shell_sort_ascendingIdiEEvT0_PT_PS2_@rel32@lo+4
	s_addc_u32 s7, s7, __PRETTY_FUNCTION__._ZN9rocsolver6v33100L20shell_sort_ascendingIdiEEvT0_PT_PS2_@rel32@hi+12
	v_mov_b32_e32 v0, s4
	v_mov_b32_e32 v1, s5
	;; [unrolled: 1-line block ×5, first 2 shown]
	s_getpc_b64 s[10:11]
	s_add_u32 s10, s10, __assert_fail@rel32@lo+4
	s_addc_u32 s11, s11, __assert_fail@rel32@hi+12
	s_swappc_b64 s[30:31], s[10:11]
	s_or_b32 s25, s25, exec_lo
	s_or_b32 exec_lo, exec_lo, s26
	s_and_saveexec_b32 s4, s25
	s_cbranch_execnz .LBB38_69
	s_branch .LBB38_70
	.section	.rodata,"a",@progbits
	.p2align	6, 0x0
	.amdhsa_kernel _ZN9rocsolver6v33100L11stedcx_sortI19rocblas_complex_numIdEdPS3_EEviPT0_lT1_iiliPiS8_
		.amdhsa_group_segment_fixed_size 4096
		.amdhsa_private_segment_fixed_size 64
		.amdhsa_kernarg_size 328
		.amdhsa_user_sgpr_count 10
		.amdhsa_user_sgpr_private_segment_buffer 1
		.amdhsa_user_sgpr_dispatch_ptr 1
		.amdhsa_user_sgpr_queue_ptr 0
		.amdhsa_user_sgpr_kernarg_segment_ptr 1
		.amdhsa_user_sgpr_dispatch_id 0
		.amdhsa_user_sgpr_flat_scratch_init 1
		.amdhsa_user_sgpr_private_segment_size 0
		.amdhsa_wavefront_size32 1
		.amdhsa_uses_dynamic_stack 0
		.amdhsa_system_sgpr_private_segment_wavefront_offset 1
		.amdhsa_system_sgpr_workgroup_id_x 1
		.amdhsa_system_sgpr_workgroup_id_y 0
		.amdhsa_system_sgpr_workgroup_id_z 1
		.amdhsa_system_sgpr_workgroup_info 0
		.amdhsa_system_vgpr_workitem_id 2
		.amdhsa_next_free_vgpr 50
		.amdhsa_next_free_sgpr 56
		.amdhsa_reserve_vcc 1
		.amdhsa_reserve_flat_scratch 1
		.amdhsa_float_round_mode_32 0
		.amdhsa_float_round_mode_16_64 0
		.amdhsa_float_denorm_mode_32 3
		.amdhsa_float_denorm_mode_16_64 3
		.amdhsa_dx10_clamp 1
		.amdhsa_ieee_mode 1
		.amdhsa_fp16_overflow 0
		.amdhsa_workgroup_processor_mode 1
		.amdhsa_memory_ordered 1
		.amdhsa_forward_progress 1
		.amdhsa_shared_vgpr_count 0
		.amdhsa_exception_fp_ieee_invalid_op 0
		.amdhsa_exception_fp_denorm_src 0
		.amdhsa_exception_fp_ieee_div_zero 0
		.amdhsa_exception_fp_ieee_overflow 0
		.amdhsa_exception_fp_ieee_underflow 0
		.amdhsa_exception_fp_ieee_inexact 0
		.amdhsa_exception_int_div_zero 0
	.end_amdhsa_kernel
	.section	.text._ZN9rocsolver6v33100L11stedcx_sortI19rocblas_complex_numIdEdPS3_EEviPT0_lT1_iiliPiS8_,"axG",@progbits,_ZN9rocsolver6v33100L11stedcx_sortI19rocblas_complex_numIdEdPS3_EEviPT0_lT1_iiliPiS8_,comdat
.Lfunc_end38:
	.size	_ZN9rocsolver6v33100L11stedcx_sortI19rocblas_complex_numIdEdPS3_EEviPT0_lT1_iiliPiS8_, .Lfunc_end38-_ZN9rocsolver6v33100L11stedcx_sortI19rocblas_complex_numIdEdPS3_EEviPT0_lT1_iiliPiS8_
                                        ; -- End function
	.set _ZN9rocsolver6v33100L11stedcx_sortI19rocblas_complex_numIdEdPS3_EEviPT0_lT1_iiliPiS8_.num_vgpr, max(20, .L__assert_fail.num_vgpr)
	.set _ZN9rocsolver6v33100L11stedcx_sortI19rocblas_complex_numIdEdPS3_EEviPT0_lT1_iiliPiS8_.num_agpr, max(0, .L__assert_fail.num_agpr)
	.set _ZN9rocsolver6v33100L11stedcx_sortI19rocblas_complex_numIdEdPS3_EEviPT0_lT1_iiliPiS8_.numbered_sgpr, max(56, .L__assert_fail.numbered_sgpr)
	.set _ZN9rocsolver6v33100L11stedcx_sortI19rocblas_complex_numIdEdPS3_EEviPT0_lT1_iiliPiS8_.num_named_barrier, max(0, .L__assert_fail.num_named_barrier)
	.set _ZN9rocsolver6v33100L11stedcx_sortI19rocblas_complex_numIdEdPS3_EEviPT0_lT1_iiliPiS8_.private_seg_size, 0+max(.L__assert_fail.private_seg_size)
	.set _ZN9rocsolver6v33100L11stedcx_sortI19rocblas_complex_numIdEdPS3_EEviPT0_lT1_iiliPiS8_.uses_vcc, or(1, .L__assert_fail.uses_vcc)
	.set _ZN9rocsolver6v33100L11stedcx_sortI19rocblas_complex_numIdEdPS3_EEviPT0_lT1_iiliPiS8_.uses_flat_scratch, or(1, .L__assert_fail.uses_flat_scratch)
	.set _ZN9rocsolver6v33100L11stedcx_sortI19rocblas_complex_numIdEdPS3_EEviPT0_lT1_iiliPiS8_.has_dyn_sized_stack, or(0, .L__assert_fail.has_dyn_sized_stack)
	.set _ZN9rocsolver6v33100L11stedcx_sortI19rocblas_complex_numIdEdPS3_EEviPT0_lT1_iiliPiS8_.has_recursion, or(0, .L__assert_fail.has_recursion)
	.set _ZN9rocsolver6v33100L11stedcx_sortI19rocblas_complex_numIdEdPS3_EEviPT0_lT1_iiliPiS8_.has_indirect_call, or(0, .L__assert_fail.has_indirect_call)
	.section	.AMDGPU.csdata,"",@progbits
; Kernel info:
; codeLenInByte = 2576
; TotalNumSgprs: 58
; NumVgprs: 50
; ScratchSize: 64
; MemoryBound: 0
; FloatMode: 240
; IeeeMode: 1
; LDSByteSize: 4096 bytes/workgroup (compile time only)
; SGPRBlocks: 0
; VGPRBlocks: 6
; NumSGPRsForWavesPerEU: 58
; NumVGPRsForWavesPerEU: 50
; Occupancy: 16
; WaveLimiterHint : 1
; COMPUTE_PGM_RSRC2:SCRATCH_EN: 1
; COMPUTE_PGM_RSRC2:USER_SGPR: 10
; COMPUTE_PGM_RSRC2:TRAP_HANDLER: 0
; COMPUTE_PGM_RSRC2:TGID_X_EN: 1
; COMPUTE_PGM_RSRC2:TGID_Y_EN: 0
; COMPUTE_PGM_RSRC2:TGID_Z_EN: 1
; COMPUTE_PGM_RSRC2:TIDIG_COMP_CNT: 2
	.text
	.p2alignl 6, 3214868480
	.fill 48, 4, 3214868480
	.section	.AMDGPU.gpr_maximums,"",@progbits
	.set amdgpu.max_num_vgpr, 50
	.set amdgpu.max_num_agpr, 0
	.set amdgpu.max_num_sgpr, 34
	.text
	.type	__const.__assert_fail.fmt,@object ; @__const.__assert_fail.fmt
	.section	.rodata.str1.16,"aMS",@progbits,1
	.p2align	4, 0x0
__const.__assert_fail.fmt:
	.asciz	"%s:%u: %s: Device-side assertion `%s' failed.\n"
	.size	__const.__assert_fail.fmt, 47

	.type	__const._ZN9rocsolver6v33100L20shell_sort_ascendingIfiEEvT0_PT_PS2_.gaps,@object ; @__const._ZN9rocsolver6v33100L20shell_sort_ascendingIfiEEvT0_PT_PS2_.gaps
	.section	.rodata.cst32,"aM",@progbits,32
	.p2align	4, 0x0
__const._ZN9rocsolver6v33100L20shell_sort_ascendingIfiEEvT0_PT_PS2_.gaps:
	.long	701                             ; 0x2bd
	.long	301                             ; 0x12d
	;; [unrolled: 1-line block ×3, first 2 shown]
	.long	57                              ; 0x39
	.long	23                              ; 0x17
	;; [unrolled: 1-line block ×3, first 2 shown]
	.long	4                               ; 0x4
	.long	1                               ; 0x1
	.size	__const._ZN9rocsolver6v33100L20shell_sort_ascendingIfiEEvT0_PT_PS2_.gaps, 32

	.type	.str.5,@object                  ; @.str.5
	.section	.rodata.str1.1,"aMS",@progbits,1
.str.5:
	.asciz	"std::isnan(a[k]) || std::isnan(a[k + 1]) || a[k] <= a[k + 1]"
	.size	.str.5, 61

	.type	.str.6,@object                  ; @.str.6
.str.6:
	.asciz	"/root/src/amdgpu-assembly/repos/ROCm__rocSOLVER/library/src/include/lib_device_helpers.hpp"
	.size	.str.6, 91

	.type	__PRETTY_FUNCTION__._ZN9rocsolver6v33100L20shell_sort_ascendingIfiEEvT0_PT_PS2_,@object ; @__PRETTY_FUNCTION__._ZN9rocsolver6v33100L20shell_sort_ascendingIfiEEvT0_PT_PS2_
__PRETTY_FUNCTION__._ZN9rocsolver6v33100L20shell_sort_ascendingIfiEEvT0_PT_PS2_:
	.asciz	"void rocsolver::shell_sort_ascending(const I, S *, I *) [S = float, I = int]"
	.size	__PRETTY_FUNCTION__._ZN9rocsolver6v33100L20shell_sort_ascendingIfiEEvT0_PT_PS2_, 77

	.type	.str.8,@object                  ; @.str.8
.str.8:
	.asciz	"std::isnan(map[k]) || map[k] == k"
	.size	.str.8, 34

	.type	__PRETTY_FUNCTION__._ZN9rocsolver6v33100L12permute_swapIfiEEvT0_PT_S2_PS2_S2_,@object ; @__PRETTY_FUNCTION__._ZN9rocsolver6v33100L12permute_swapIfiEEvT0_PT_S2_PS2_S2_
__PRETTY_FUNCTION__._ZN9rocsolver6v33100L12permute_swapIfiEEvT0_PT_S2_PS2_S2_:
	.asciz	"void rocsolver::permute_swap(const I, T *, I, I *, const I) [T = float, I = int]"
	.size	__PRETTY_FUNCTION__._ZN9rocsolver6v33100L12permute_swapIfiEEvT0_PT_S2_PS2_S2_, 81

	.type	__const._ZN9rocsolver6v33100L20shell_sort_ascendingIdiEEvT0_PT_PS2_.gaps,@object ; @__const._ZN9rocsolver6v33100L20shell_sort_ascendingIdiEEvT0_PT_PS2_.gaps
	.section	.rodata.cst32,"aM",@progbits,32
	.p2align	4, 0x0
__const._ZN9rocsolver6v33100L20shell_sort_ascendingIdiEEvT0_PT_PS2_.gaps:
	.long	701                             ; 0x2bd
	.long	301                             ; 0x12d
	.long	132                             ; 0x84
	.long	57                              ; 0x39
	.long	23                              ; 0x17
	;; [unrolled: 1-line block ×3, first 2 shown]
	.long	4                               ; 0x4
	.long	1                               ; 0x1
	.size	__const._ZN9rocsolver6v33100L20shell_sort_ascendingIdiEEvT0_PT_PS2_.gaps, 32

	.type	__PRETTY_FUNCTION__._ZN9rocsolver6v33100L20shell_sort_ascendingIdiEEvT0_PT_PS2_,@object ; @__PRETTY_FUNCTION__._ZN9rocsolver6v33100L20shell_sort_ascendingIdiEEvT0_PT_PS2_
	.section	.rodata.str1.1,"aMS",@progbits,1
__PRETTY_FUNCTION__._ZN9rocsolver6v33100L20shell_sort_ascendingIdiEEvT0_PT_PS2_:
	.asciz	"void rocsolver::shell_sort_ascending(const I, S *, I *) [S = double, I = int]"
	.size	__PRETTY_FUNCTION__._ZN9rocsolver6v33100L20shell_sort_ascendingIdiEEvT0_PT_PS2_, 78

	.type	__PRETTY_FUNCTION__._ZN9rocsolver6v33100L12permute_swapIdiEEvT0_PT_S2_PS2_S2_,@object ; @__PRETTY_FUNCTION__._ZN9rocsolver6v33100L12permute_swapIdiEEvT0_PT_S2_PS2_S2_
__PRETTY_FUNCTION__._ZN9rocsolver6v33100L12permute_swapIdiEEvT0_PT_S2_PS2_S2_:
	.asciz	"void rocsolver::permute_swap(const I, T *, I, I *, const I) [T = double, I = int]"
	.size	__PRETTY_FUNCTION__._ZN9rocsolver6v33100L12permute_swapIdiEEvT0_PT_S2_PS2_S2_, 82

	.type	__PRETTY_FUNCTION__._ZN9rocsolver6v33100L12permute_swapI19rocblas_complex_numIfEiEEvT0_PT_S4_PS4_S4_,@object ; @__PRETTY_FUNCTION__._ZN9rocsolver6v33100L12permute_swapI19rocblas_complex_numIfEiEEvT0_PT_S4_PS4_S4_
__PRETTY_FUNCTION__._ZN9rocsolver6v33100L12permute_swapI19rocblas_complex_numIfEiEEvT0_PT_S4_PS4_S4_:
	.asciz	"void rocsolver::permute_swap(const I, T *, I, I *, const I) [T = rocblas_complex_num<float>, I = int]"
	.size	__PRETTY_FUNCTION__._ZN9rocsolver6v33100L12permute_swapI19rocblas_complex_numIfEiEEvT0_PT_S4_PS4_S4_, 102

	.type	__PRETTY_FUNCTION__._ZN9rocsolver6v33100L12permute_swapI19rocblas_complex_numIdEiEEvT0_PT_S4_PS4_S4_,@object ; @__PRETTY_FUNCTION__._ZN9rocsolver6v33100L12permute_swapI19rocblas_complex_numIdEiEEvT0_PT_S4_PS4_S4_
__PRETTY_FUNCTION__._ZN9rocsolver6v33100L12permute_swapI19rocblas_complex_numIdEiEEvT0_PT_S4_PS4_S4_:
	.asciz	"void rocsolver::permute_swap(const I, T *, I, I *, const I) [T = rocblas_complex_num<double>, I = int]"
	.size	__PRETTY_FUNCTION__._ZN9rocsolver6v33100L12permute_swapI19rocblas_complex_numIdEiEEvT0_PT_S4_PS4_S4_, 103

	.type	__hip_cuid_846494ea96d610a5,@object ; @__hip_cuid_846494ea96d610a5
	.section	.bss,"aw",@nobits
	.globl	__hip_cuid_846494ea96d610a5
__hip_cuid_846494ea96d610a5:
	.byte	0                               ; 0x0
	.size	__hip_cuid_846494ea96d610a5, 1

	.ident	"AMD clang version 22.0.0git (https://github.com/RadeonOpenCompute/llvm-project roc-7.2.4 26084 f58b06dce1f9c15707c5f808fd002e18c2accf7e)"
	.section	".note.GNU-stack","",@progbits
	.addrsig
	.addrsig_sym __hip_cuid_846494ea96d610a5
	.amdgpu_metadata
---
amdhsa.kernels:
  - .args:
      - .address_space:  global
        .offset:         0
        .size:           8
        .value_kind:     global_buffer
      - .offset:         8
        .size:           4
        .value_kind:     by_value
      - .offset:         12
        .size:           4
        .value_kind:     by_value
      - .offset:         16
        .size:           4
        .value_kind:     by_value
      - .offset:         24
        .size:           4
        .value_kind:     hidden_block_count_x
      - .offset:         28
        .size:           4
        .value_kind:     hidden_block_count_y
      - .offset:         32
        .size:           4
        .value_kind:     hidden_block_count_z
      - .offset:         36
        .size:           2
        .value_kind:     hidden_group_size_x
      - .offset:         38
        .size:           2
        .value_kind:     hidden_group_size_y
      - .offset:         40
        .size:           2
        .value_kind:     hidden_group_size_z
      - .offset:         42
        .size:           2
        .value_kind:     hidden_remainder_x
      - .offset:         44
        .size:           2
        .value_kind:     hidden_remainder_y
      - .offset:         46
        .size:           2
        .value_kind:     hidden_remainder_z
      - .offset:         64
        .size:           8
        .value_kind:     hidden_global_offset_x
      - .offset:         72
        .size:           8
        .value_kind:     hidden_global_offset_y
      - .offset:         80
        .size:           8
        .value_kind:     hidden_global_offset_z
      - .offset:         88
        .size:           2
        .value_kind:     hidden_grid_dims
    .group_segment_fixed_size: 0
    .kernarg_segment_align: 8
    .kernarg_segment_size: 280
    .language:       OpenCL C
    .language_version:
      - 2
      - 0
    .max_flat_workgroup_size: 1024
    .name:           _ZN9rocsolver6v33100L10reset_infoIiiiEEvPT_T0_T1_S4_
    .private_segment_fixed_size: 0
    .sgpr_count:     10
    .sgpr_spill_count: 0
    .symbol:         _ZN9rocsolver6v33100L10reset_infoIiiiEEvPT_T0_T1_S4_.kd
    .uniform_work_group_size: 1
    .uses_dynamic_stack: false
    .vgpr_count:     5
    .vgpr_spill_count: 0
    .wavefront_size: 32
    .workgroup_processor_mode: 1
  - .args:
      - .address_space:  global
        .offset:         0
        .size:           8
        .value_kind:     global_buffer
      - .offset:         8
        .size:           8
        .value_kind:     by_value
      - .offset:         16
        .size:           4
        .value_kind:     by_value
      - .offset:         20
        .size:           4
        .value_kind:     by_value
      - .offset:         24
        .size:           4
        .value_kind:     hidden_block_count_x
      - .offset:         28
        .size:           4
        .value_kind:     hidden_block_count_y
      - .offset:         32
        .size:           4
        .value_kind:     hidden_block_count_z
      - .offset:         36
        .size:           2
        .value_kind:     hidden_group_size_x
      - .offset:         38
        .size:           2
        .value_kind:     hidden_group_size_y
      - .offset:         40
        .size:           2
        .value_kind:     hidden_group_size_z
      - .offset:         42
        .size:           2
        .value_kind:     hidden_remainder_x
      - .offset:         44
        .size:           2
        .value_kind:     hidden_remainder_y
      - .offset:         46
        .size:           2
        .value_kind:     hidden_remainder_z
      - .offset:         64
        .size:           8
        .value_kind:     hidden_global_offset_x
      - .offset:         72
        .size:           8
        .value_kind:     hidden_global_offset_y
      - .offset:         80
        .size:           8
        .value_kind:     hidden_global_offset_z
      - .offset:         88
        .size:           2
        .value_kind:     hidden_grid_dims
    .group_segment_fixed_size: 0
    .kernarg_segment_align: 8
    .kernarg_segment_size: 280
    .language:       OpenCL C
    .language_version:
      - 2
      - 0
    .max_flat_workgroup_size: 1024
    .name:           _ZN9rocsolver6v33100L16reset_batch_infoIfiiPfEEvT2_lT0_T1_
    .private_segment_fixed_size: 0
    .sgpr_count:     14
    .sgpr_spill_count: 0
    .symbol:         _ZN9rocsolver6v33100L16reset_batch_infoIfiiPfEEvT2_lT0_T1_.kd
    .uniform_work_group_size: 1
    .uses_dynamic_stack: false
    .vgpr_count:     3
    .vgpr_spill_count: 0
    .wavefront_size: 32
    .workgroup_processor_mode: 1
  - .args:
      - .offset:         0
        .size:           4
        .value_kind:     by_value
      - .offset:         4
        .size:           4
        .value_kind:     by_value
      - .offset:         8
        .size:           4
        .value_kind:     by_value
      - .address_space:  global
        .offset:         16
        .size:           8
        .value_kind:     global_buffer
      - .offset:         24
        .size:           8
        .value_kind:     by_value
      - .address_space:  global
        .offset:         32
        .size:           8
        .value_kind:     global_buffer
      - .address_space:  global
        .offset:         40
        .size:           8
        .value_kind:     global_buffer
      - .offset:         48
        .size:           8
        .value_kind:     by_value
    .group_segment_fixed_size: 0
    .kernarg_segment_align: 8
    .kernarg_segment_size: 56
    .language:       OpenCL C
    .language_version:
      - 2
      - 0
    .max_flat_workgroup_size: 1024
    .name:           _ZN9rocsolver6v33100L19stedcx_case1_kernelIfEEv15rocblas_erange_T_S3_PS3_lPiS4_l
    .private_segment_fixed_size: 0
    .sgpr_count:     19
    .sgpr_spill_count: 0
    .symbol:         _ZN9rocsolver6v33100L19stedcx_case1_kernelIfEEv15rocblas_erange_T_S3_PS3_lPiS4_l.kd
    .uniform_work_group_size: 1
    .uses_dynamic_stack: false
    .vgpr_count:     3
    .vgpr_spill_count: 0
    .wavefront_size: 32
    .workgroup_processor_mode: 1
  - .args:
      - .offset:         0
        .size:           4
        .value_kind:     by_value
      - .offset:         4
        .size:           4
        .value_kind:     by_value
      - .address_space:  global
        .offset:         8
        .size:           8
        .value_kind:     global_buffer
      - .offset:         16
        .size:           4
        .value_kind:     by_value
      - .offset:         20
        .size:           4
        .value_kind:     by_value
      - .offset:         24
        .size:           8
        .value_kind:     by_value
      - .offset:         32
        .size:           4
        .value_kind:     hidden_block_count_x
      - .offset:         36
        .size:           4
        .value_kind:     hidden_block_count_y
      - .offset:         40
        .size:           4
        .value_kind:     hidden_block_count_z
      - .offset:         44
        .size:           2
        .value_kind:     hidden_group_size_x
      - .offset:         46
        .size:           2
        .value_kind:     hidden_group_size_y
      - .offset:         48
        .size:           2
        .value_kind:     hidden_group_size_z
      - .offset:         50
        .size:           2
        .value_kind:     hidden_remainder_x
      - .offset:         52
        .size:           2
        .value_kind:     hidden_remainder_y
      - .offset:         54
        .size:           2
        .value_kind:     hidden_remainder_z
      - .offset:         72
        .size:           8
        .value_kind:     hidden_global_offset_x
      - .offset:         80
        .size:           8
        .value_kind:     hidden_global_offset_y
      - .offset:         88
        .size:           8
        .value_kind:     hidden_global_offset_z
      - .offset:         96
        .size:           2
        .value_kind:     hidden_grid_dims
    .group_segment_fixed_size: 0
    .kernarg_segment_align: 8
    .kernarg_segment_size: 288
    .language:       OpenCL C
    .language_version:
      - 2
      - 0
    .max_flat_workgroup_size: 1024
    .name:           _ZN9rocsolver6v33100L10init_identIfPfEEviiT0_iil
    .private_segment_fixed_size: 0
    .sgpr_count:     11
    .sgpr_spill_count: 0
    .symbol:         _ZN9rocsolver6v33100L10init_identIfPfEEviiT0_iil.kd
    .uniform_work_group_size: 1
    .uses_dynamic_stack: false
    .vgpr_count:     5
    .vgpr_spill_count: 0
    .wavefront_size: 32
    .workgroup_processor_mode: 1
  - .args:
      - .offset:         0
        .size:           4
        .value_kind:     by_value
      - .offset:         4
        .size:           4
        .value_kind:     by_value
      - .offset:         8
        .size:           4
        .value_kind:     by_value
      - .offset:         12
        .size:           4
        .value_kind:     by_value
      - .offset:         16
        .size:           4
        .value_kind:     by_value
      - .offset:         20
        .size:           4
        .value_kind:     by_value
      - .address_space:  global
        .offset:         24
        .size:           8
        .value_kind:     global_buffer
      - .offset:         32
        .size:           8
        .value_kind:     by_value
      - .address_space:  global
        .offset:         40
        .size:           8
        .value_kind:     global_buffer
      - .offset:         48
        .size:           8
        .value_kind:     by_value
      - .address_space:  global
        .offset:         56
        .size:           8
        .value_kind:     global_buffer
      - .offset:         64
        .size:           8
        .value_kind:     by_value
      - .address_space:  global
        .offset:         72
        .size:           8
        .value_kind:     global_buffer
      - .address_space:  global
        .offset:         80
        .size:           8
        .value_kind:     global_buffer
      - .offset:         88
        .size:           4
        .value_kind:     by_value
      - .offset:         92
        .size:           4
        .value_kind:     by_value
      - .offset:         96
        .size:           4
        .value_kind:     hidden_block_count_x
      - .offset:         100
        .size:           4
        .value_kind:     hidden_block_count_y
      - .offset:         104
        .size:           4
        .value_kind:     hidden_block_count_z
      - .offset:         108
        .size:           2
        .value_kind:     hidden_group_size_x
      - .offset:         110
        .size:           2
        .value_kind:     hidden_group_size_y
      - .offset:         112
        .size:           2
        .value_kind:     hidden_group_size_z
      - .offset:         114
        .size:           2
        .value_kind:     hidden_remainder_x
      - .offset:         116
        .size:           2
        .value_kind:     hidden_remainder_y
      - .offset:         118
        .size:           2
        .value_kind:     hidden_remainder_z
      - .offset:         136
        .size:           8
        .value_kind:     hidden_global_offset_x
      - .offset:         144
        .size:           8
        .value_kind:     hidden_global_offset_y
      - .offset:         152
        .size:           8
        .value_kind:     hidden_global_offset_z
      - .offset:         160
        .size:           2
        .value_kind:     hidden_grid_dims
    .group_segment_fixed_size: 2048
    .kernarg_segment_align: 8
    .kernarg_segment_size: 352
    .language:       OpenCL C
    .language_version:
      - 2
      - 0
    .max_flat_workgroup_size: 256
    .name:           _ZN9rocsolver6v33100L19stedcx_split_kernelIfEEv15rocblas_erange_iT_S3_iiPS3_lS4_lS4_lPiS4_S3_S3_
    .private_segment_fixed_size: 0
    .sgpr_count:     54
    .sgpr_spill_count: 0
    .symbol:         _ZN9rocsolver6v33100L19stedcx_split_kernelIfEEv15rocblas_erange_iT_S3_iiPS3_lS4_lS4_lPiS4_S3_S3_.kd
    .uniform_work_group_size: 1
    .uses_dynamic_stack: false
    .vgpr_count:     23
    .vgpr_spill_count: 0
    .wavefront_size: 32
    .workgroup_processor_mode: 1
  - .args:
      - .offset:         0
        .size:           4
        .value_kind:     by_value
      - .address_space:  global
        .offset:         8
        .size:           8
        .value_kind:     global_buffer
      - .offset:         16
        .size:           8
        .value_kind:     by_value
      - .address_space:  global
        .offset:         24
        .size:           8
        .value_kind:     global_buffer
      - .offset:         32
        .size:           8
        .value_kind:     by_value
      - .address_space:  global
        .offset:         40
        .size:           8
        .value_kind:     global_buffer
    .group_segment_fixed_size: 0
    .kernarg_segment_align: 8
    .kernarg_segment_size: 48
    .language:       OpenCL C
    .language_version:
      - 2
      - 0
    .max_flat_workgroup_size: 512
    .name:           _ZN9rocsolver6v33100L20stedcx_divide_kernelIfEEviPT_lS3_lPi
    .private_segment_fixed_size: 0
    .sgpr_count:     30
    .sgpr_spill_count: 0
    .symbol:         _ZN9rocsolver6v33100L20stedcx_divide_kernelIfEEviPT_lS3_lPi.kd
    .uniform_work_group_size: 1
    .uses_dynamic_stack: false
    .vgpr_count:     19
    .vgpr_spill_count: 0
    .wavefront_size: 32
    .workgroup_processor_mode: 1
  - .args:
      - .offset:         0
        .size:           4
        .value_kind:     by_value
      - .address_space:  global
        .offset:         8
        .size:           8
        .value_kind:     global_buffer
      - .offset:         16
        .size:           8
        .value_kind:     by_value
      - .address_space:  global
        .offset:         24
        .size:           8
        .value_kind:     global_buffer
      - .offset:         32
        .size:           8
        .value_kind:     by_value
      - .address_space:  global
        .offset:         40
        .size:           8
        .value_kind:     global_buffer
      - .offset:         48
        .size:           4
        .value_kind:     by_value
      - .offset:         52
        .size:           4
        .value_kind:     by_value
      - .offset:         56
        .size:           8
        .value_kind:     by_value
      - .address_space:  global
        .offset:         64
        .size:           8
        .value_kind:     global_buffer
      - .address_space:  global
        .offset:         72
        .size:           8
        .value_kind:     global_buffer
      - .address_space:  global
        .offset:         80
        .size:           8
        .value_kind:     global_buffer
      - .offset:         88
        .size:           4
        .value_kind:     by_value
      - .offset:         92
        .size:           4
        .value_kind:     by_value
      - .offset:         96
        .size:           4
        .value_kind:     by_value
      - .offset:         104
        .size:           4
        .value_kind:     hidden_block_count_x
      - .offset:         108
        .size:           4
        .value_kind:     hidden_block_count_y
      - .offset:         112
        .size:           4
        .value_kind:     hidden_block_count_z
      - .offset:         116
        .size:           2
        .value_kind:     hidden_group_size_x
      - .offset:         118
        .size:           2
        .value_kind:     hidden_group_size_y
      - .offset:         120
        .size:           2
        .value_kind:     hidden_group_size_z
      - .offset:         122
        .size:           2
        .value_kind:     hidden_remainder_x
      - .offset:         124
        .size:           2
        .value_kind:     hidden_remainder_y
      - .offset:         126
        .size:           2
        .value_kind:     hidden_remainder_z
      - .offset:         144
        .size:           8
        .value_kind:     hidden_global_offset_x
      - .offset:         152
        .size:           8
        .value_kind:     hidden_global_offset_y
      - .offset:         160
        .size:           8
        .value_kind:     hidden_global_offset_z
      - .offset:         168
        .size:           2
        .value_kind:     hidden_grid_dims
    .group_segment_fixed_size: 36
    .kernarg_segment_align: 8
    .kernarg_segment_size: 360
    .language:       OpenCL C
    .language_version:
      - 2
      - 0
    .max_flat_workgroup_size: 512
    .name:           _ZN9rocsolver6v33100L19stedcx_solve_kernelIfEEviPT_lS3_lS3_iilPiS3_S4_S2_S2_S2_
    .private_segment_fixed_size: 0
    .sgpr_count:     107
    .sgpr_spill_count: 2
    .symbol:         _ZN9rocsolver6v33100L19stedcx_solve_kernelIfEEviPT_lS3_lS3_iilPiS3_S4_S2_S2_S2_.kd
    .uniform_work_group_size: 1
    .uses_dynamic_stack: false
    .vgpr_count:     72
    .vgpr_spill_count: 0
    .wavefront_size: 32
    .workgroup_processor_mode: 1
  - .args:
      - .offset:         0
        .size:           4
        .value_kind:     by_value
      - .offset:         4
        .size:           4
        .value_kind:     by_value
      - .address_space:  global
        .offset:         8
        .size:           8
        .value_kind:     global_buffer
      - .offset:         16
        .size:           8
        .value_kind:     by_value
      - .address_space:  global
        .offset:         24
        .size:           8
        .value_kind:     global_buffer
      - .offset:         32
        .size:           8
        .value_kind:     by_value
      - .address_space:  global
        .offset:         40
        .size:           8
        .value_kind:     global_buffer
      - .offset:         48
        .size:           4
        .value_kind:     by_value
      - .offset:         52
        .size:           4
        .value_kind:     by_value
      - .offset:         56
        .size:           8
        .value_kind:     by_value
      - .address_space:  global
        .offset:         64
        .size:           8
        .value_kind:     global_buffer
      - .address_space:  global
        .offset:         72
        .size:           8
        .value_kind:     global_buffer
      - .address_space:  global
        .offset:         80
        .size:           8
        .value_kind:     global_buffer
      - .offset:         88
        .size:           4
        .value_kind:     by_value
      - .offset:         96
        .size:           4
        .value_kind:     hidden_block_count_x
      - .offset:         100
        .size:           4
        .value_kind:     hidden_block_count_y
      - .offset:         104
        .size:           4
        .value_kind:     hidden_block_count_z
      - .offset:         108
        .size:           2
        .value_kind:     hidden_group_size_x
      - .offset:         110
        .size:           2
        .value_kind:     hidden_group_size_y
      - .offset:         112
        .size:           2
        .value_kind:     hidden_group_size_z
      - .offset:         114
        .size:           2
        .value_kind:     hidden_remainder_x
      - .offset:         116
        .size:           2
        .value_kind:     hidden_remainder_y
      - .offset:         118
        .size:           2
        .value_kind:     hidden_remainder_z
      - .offset:         136
        .size:           8
        .value_kind:     hidden_global_offset_x
      - .offset:         144
        .size:           8
        .value_kind:     hidden_global_offset_y
      - .offset:         152
        .size:           8
        .value_kind:     hidden_global_offset_z
      - .offset:         160
        .size:           2
        .value_kind:     hidden_grid_dims
      - .offset:         216
        .size:           4
        .value_kind:     hidden_dynamic_lds_size
    .group_segment_fixed_size: 0
    .kernarg_segment_align: 8
    .kernarg_segment_size: 352
    .language:       OpenCL C
    .language_version:
      - 2
      - 0
    .max_flat_workgroup_size: 512
    .name:           _ZN9rocsolver6v33100L26stedcx_mergePrepare_kernelIfEEviiPT_lS3_lS3_iilS3_S3_PiS2_
    .private_segment_fixed_size: 0
    .sgpr_count:     74
    .sgpr_spill_count: 0
    .symbol:         _ZN9rocsolver6v33100L26stedcx_mergePrepare_kernelIfEEviiPT_lS3_lS3_iilS3_S3_PiS2_.kd
    .uniform_work_group_size: 1
    .uses_dynamic_stack: false
    .vgpr_count:     31
    .vgpr_spill_count: 0
    .wavefront_size: 32
    .workgroup_processor_mode: 1
  - .args:
      - .offset:         0
        .size:           4
        .value_kind:     by_value
      - .offset:         4
        .size:           4
        .value_kind:     by_value
      - .address_space:  global
        .offset:         8
        .size:           8
        .value_kind:     global_buffer
      - .offset:         16
        .size:           8
        .value_kind:     by_value
      - .address_space:  global
        .offset:         24
        .size:           8
        .value_kind:     global_buffer
      - .offset:         32
        .size:           8
        .value_kind:     by_value
      - .address_space:  global
        .offset:         40
        .size:           8
        .value_kind:     global_buffer
      - .address_space:  global
        .offset:         48
        .size:           8
        .value_kind:     global_buffer
      - .address_space:  global
        .offset:         56
        .size:           8
        .value_kind:     global_buffer
      - .offset:         64
        .size:           4
        .value_kind:     by_value
      - .offset:         68
        .size:           4
        .value_kind:     by_value
      - .offset:         72
        .size:           4
        .value_kind:     by_value
      - .offset:         80
        .size:           4
        .value_kind:     hidden_block_count_x
      - .offset:         84
        .size:           4
        .value_kind:     hidden_block_count_y
      - .offset:         88
        .size:           4
        .value_kind:     hidden_block_count_z
      - .offset:         92
        .size:           2
        .value_kind:     hidden_group_size_x
      - .offset:         94
        .size:           2
        .value_kind:     hidden_group_size_y
      - .offset:         96
        .size:           2
        .value_kind:     hidden_group_size_z
      - .offset:         98
        .size:           2
        .value_kind:     hidden_remainder_x
      - .offset:         100
        .size:           2
        .value_kind:     hidden_remainder_y
      - .offset:         102
        .size:           2
        .value_kind:     hidden_remainder_z
      - .offset:         120
        .size:           8
        .value_kind:     hidden_global_offset_x
      - .offset:         128
        .size:           8
        .value_kind:     hidden_global_offset_y
      - .offset:         136
        .size:           8
        .value_kind:     hidden_global_offset_z
      - .offset:         144
        .size:           2
        .value_kind:     hidden_grid_dims
    .group_segment_fixed_size: 0
    .kernarg_segment_align: 8
    .kernarg_segment_size: 336
    .language:       OpenCL C
    .language_version:
      - 2
      - 0
    .max_flat_workgroup_size: 512
    .name:           _ZN9rocsolver6v33100L25stedcx_mergeValues_kernelIfEEviiPT_lS3_lS3_S3_PiS2_S2_S2_
    .private_segment_fixed_size: 0
    .sgpr_count:     107
    .sgpr_spill_count: 1
    .symbol:         _ZN9rocsolver6v33100L25stedcx_mergeValues_kernelIfEEviiPT_lS3_lS3_S3_PiS2_S2_S2_.kd
    .uniform_work_group_size: 1
    .uses_dynamic_stack: false
    .vgpr_count:     53
    .vgpr_spill_count: 0
    .wavefront_size: 32
    .workgroup_processor_mode: 1
  - .args:
      - .offset:         0
        .size:           4
        .value_kind:     by_value
      - .offset:         4
        .size:           4
        .value_kind:     by_value
      - .address_space:  global
        .offset:         8
        .size:           8
        .value_kind:     global_buffer
      - .offset:         16
        .size:           8
        .value_kind:     by_value
      - .address_space:  global
        .offset:         24
        .size:           8
        .value_kind:     global_buffer
      - .offset:         32
        .size:           8
        .value_kind:     by_value
      - .address_space:  global
        .offset:         40
        .size:           8
        .value_kind:     global_buffer
      - .offset:         48
        .size:           4
        .value_kind:     by_value
      - .offset:         52
        .size:           4
        .value_kind:     by_value
      - .offset:         56
        .size:           8
        .value_kind:     by_value
      - .address_space:  global
        .offset:         64
        .size:           8
        .value_kind:     global_buffer
      - .address_space:  global
        .offset:         72
        .size:           8
        .value_kind:     global_buffer
      - .address_space:  global
        .offset:         80
        .size:           8
        .value_kind:     global_buffer
      - .offset:         88
        .size:           4
        .value_kind:     hidden_block_count_x
      - .offset:         92
        .size:           4
        .value_kind:     hidden_block_count_y
      - .offset:         96
        .size:           4
        .value_kind:     hidden_block_count_z
      - .offset:         100
        .size:           2
        .value_kind:     hidden_group_size_x
      - .offset:         102
        .size:           2
        .value_kind:     hidden_group_size_y
      - .offset:         104
        .size:           2
        .value_kind:     hidden_group_size_z
      - .offset:         106
        .size:           2
        .value_kind:     hidden_remainder_x
      - .offset:         108
        .size:           2
        .value_kind:     hidden_remainder_y
      - .offset:         110
        .size:           2
        .value_kind:     hidden_remainder_z
      - .offset:         128
        .size:           8
        .value_kind:     hidden_global_offset_x
      - .offset:         136
        .size:           8
        .value_kind:     hidden_global_offset_y
      - .offset:         144
        .size:           8
        .value_kind:     hidden_global_offset_z
      - .offset:         152
        .size:           2
        .value_kind:     hidden_grid_dims
      - .offset:         208
        .size:           4
        .value_kind:     hidden_dynamic_lds_size
    .group_segment_fixed_size: 0
    .kernarg_segment_align: 8
    .kernarg_segment_size: 344
    .language:       OpenCL C
    .language_version:
      - 2
      - 0
    .max_flat_workgroup_size: 512
    .name:           _ZN9rocsolver6v33100L26stedcx_mergeVectors_kernelILb0EfEEviiPT0_lS3_lS3_iilS3_S3_Pi
    .private_segment_fixed_size: 0
    .sgpr_count:     59
    .sgpr_spill_count: 0
    .symbol:         _ZN9rocsolver6v33100L26stedcx_mergeVectors_kernelILb0EfEEviiPT0_lS3_lS3_iilS3_S3_Pi.kd
    .uniform_work_group_size: 1
    .uses_dynamic_stack: false
    .vgpr_count:     23
    .vgpr_spill_count: 0
    .wavefront_size: 32
    .workgroup_processor_mode: 1
  - .args:
      - .offset:         0
        .size:           4
        .value_kind:     by_value
      - .offset:         4
        .size:           4
        .value_kind:     by_value
      - .address_space:  global
        .offset:         8
        .size:           8
        .value_kind:     global_buffer
      - .offset:         16
        .size:           8
        .value_kind:     by_value
      - .address_space:  global
        .offset:         24
        .size:           8
        .value_kind:     global_buffer
      - .offset:         32
        .size:           4
        .value_kind:     by_value
      - .offset:         36
        .size:           4
        .value_kind:     by_value
      - .offset:         40
        .size:           8
        .value_kind:     by_value
      - .address_space:  global
        .offset:         48
        .size:           8
        .value_kind:     global_buffer
      - .address_space:  global
        .offset:         56
        .size:           8
        .value_kind:     global_buffer
      - .address_space:  global
        .offset:         64
        .size:           8
        .value_kind:     global_buffer
      - .offset:         72
        .size:           4
        .value_kind:     hidden_block_count_x
      - .offset:         76
        .size:           4
        .value_kind:     hidden_block_count_y
      - .offset:         80
        .size:           4
        .value_kind:     hidden_block_count_z
      - .offset:         84
        .size:           2
        .value_kind:     hidden_group_size_x
      - .offset:         86
        .size:           2
        .value_kind:     hidden_group_size_y
      - .offset:         88
        .size:           2
        .value_kind:     hidden_group_size_z
      - .offset:         90
        .size:           2
        .value_kind:     hidden_remainder_x
      - .offset:         92
        .size:           2
        .value_kind:     hidden_remainder_y
      - .offset:         94
        .size:           2
        .value_kind:     hidden_remainder_z
      - .offset:         112
        .size:           8
        .value_kind:     hidden_global_offset_x
      - .offset:         120
        .size:           8
        .value_kind:     hidden_global_offset_y
      - .offset:         128
        .size:           8
        .value_kind:     hidden_global_offset_z
      - .offset:         136
        .size:           2
        .value_kind:     hidden_grid_dims
    .group_segment_fixed_size: 0
    .kernarg_segment_align: 8
    .kernarg_segment_size: 328
    .language:       OpenCL C
    .language_version:
      - 2
      - 0
    .max_flat_workgroup_size: 512
    .name:           _ZN9rocsolver6v33100L25stedcx_mergeUpdate_kernelIfEEviiPT_lS3_iilS3_S3_Pi
    .private_segment_fixed_size: 0
    .sgpr_count:     50
    .sgpr_spill_count: 0
    .symbol:         _ZN9rocsolver6v33100L25stedcx_mergeUpdate_kernelIfEEviiPT_lS3_iilS3_S3_Pi.kd
    .uniform_work_group_size: 1
    .uses_dynamic_stack: false
    .vgpr_count:     12
    .vgpr_spill_count: 0
    .wavefront_size: 32
    .workgroup_processor_mode: 1
  - .args:
      - .offset:         0
        .size:           4
        .value_kind:     by_value
      - .offset:         4
        .size:           4
        .value_kind:     by_value
      - .offset:         8
        .size:           4
        .value_kind:     by_value
      - .offset:         12
        .size:           4
        .value_kind:     by_value
      - .address_space:  global
        .offset:         16
        .size:           8
        .value_kind:     global_buffer
      - .offset:         24
        .size:           8
        .value_kind:     by_value
      - .address_space:  global
        .offset:         32
        .size:           8
        .value_kind:     global_buffer
      - .address_space:  global
        .offset:         40
        .size:           8
        .value_kind:     global_buffer
      - .offset:         48
        .size:           8
        .value_kind:     by_value
      - .address_space:  global
        .offset:         56
        .size:           8
        .value_kind:     global_buffer
      - .offset:         64
        .size:           4
        .value_kind:     by_value
      - .offset:         72
        .size:           8
        .value_kind:     by_value
      - .offset:         80
        .size:           4
        .value_kind:     by_value
      - .address_space:  global
        .offset:         88
        .size:           8
        .value_kind:     global_buffer
      - .address_space:  global
        .offset:         96
        .size:           8
        .value_kind:     global_buffer
      - .offset:         104
        .size:           4
        .value_kind:     by_value
      - .offset:         112
        .size:           4
        .value_kind:     hidden_block_count_x
      - .offset:         116
        .size:           4
        .value_kind:     hidden_block_count_y
      - .offset:         120
        .size:           4
        .value_kind:     hidden_block_count_z
      - .offset:         124
        .size:           2
        .value_kind:     hidden_group_size_x
      - .offset:         126
        .size:           2
        .value_kind:     hidden_group_size_y
      - .offset:         128
        .size:           2
        .value_kind:     hidden_group_size_z
      - .offset:         130
        .size:           2
        .value_kind:     hidden_remainder_x
      - .offset:         132
        .size:           2
        .value_kind:     hidden_remainder_y
      - .offset:         134
        .size:           2
        .value_kind:     hidden_remainder_z
      - .offset:         152
        .size:           8
        .value_kind:     hidden_global_offset_x
      - .offset:         160
        .size:           8
        .value_kind:     hidden_global_offset_y
      - .offset:         168
        .size:           8
        .value_kind:     hidden_global_offset_z
      - .offset:         176
        .size:           2
        .value_kind:     hidden_grid_dims
    .group_segment_fixed_size: 0
    .kernarg_segment_align: 8
    .kernarg_segment_size: 368
    .language:       OpenCL C
    .language_version:
      - 2
      - 0
    .max_flat_workgroup_size: 512
    .name:           _ZN9rocsolver6v33100L23stedcx_synthesis_kernelIfEEv15rocblas_erange_iiiPT_lPiS4_lS4_iliS5_S4_S3_
    .private_segment_fixed_size: 0
    .sgpr_count:     54
    .sgpr_spill_count: 0
    .symbol:         _ZN9rocsolver6v33100L23stedcx_synthesis_kernelIfEEv15rocblas_erange_iiiPT_lPiS4_lS4_iliS5_S4_S3_.kd
    .uniform_work_group_size: 1
    .uses_dynamic_stack: false
    .vgpr_count:     13
    .vgpr_spill_count: 0
    .wavefront_size: 32
    .workgroup_processor_mode: 1
  - .args:
      - .offset:         0
        .size:           4
        .value_kind:     by_value
      - .offset:         4
        .size:           4
        .value_kind:     by_value
      - .offset:         8
        .size:           4
        .value_kind:     by_value
      - .address_space:  global
        .offset:         16
        .size:           8
        .value_kind:     global_buffer
      - .offset:         24
        .size:           4
        .value_kind:     by_value
      - .offset:         28
        .size:           4
        .value_kind:     by_value
      - .offset:         32
        .size:           8
        .value_kind:     by_value
      - .address_space:  global
        .offset:         40
        .size:           8
        .value_kind:     global_buffer
      - .offset:         48
        .size:           1
        .value_kind:     by_value
      - .offset:         52
        .size:           4
        .value_kind:     by_value
      - .offset:         56
        .size:           4
        .value_kind:     by_value
      - .offset:         64
        .size:           4
        .value_kind:     hidden_block_count_x
      - .offset:         68
        .size:           4
        .value_kind:     hidden_block_count_y
      - .offset:         72
        .size:           4
        .value_kind:     hidden_block_count_z
      - .offset:         76
        .size:           2
        .value_kind:     hidden_group_size_x
      - .offset:         78
        .size:           2
        .value_kind:     hidden_group_size_y
      - .offset:         80
        .size:           2
        .value_kind:     hidden_group_size_z
      - .offset:         82
        .size:           2
        .value_kind:     hidden_remainder_x
      - .offset:         84
        .size:           2
        .value_kind:     hidden_remainder_y
      - .offset:         86
        .size:           2
        .value_kind:     hidden_remainder_z
      - .offset:         104
        .size:           8
        .value_kind:     hidden_global_offset_x
      - .offset:         112
        .size:           8
        .value_kind:     hidden_global_offset_y
      - .offset:         120
        .size:           8
        .value_kind:     hidden_global_offset_z
      - .offset:         128
        .size:           2
        .value_kind:     hidden_grid_dims
    .group_segment_fixed_size: 0
    .kernarg_segment_align: 8
    .kernarg_segment_size: 320
    .language:       OpenCL C
    .language_version:
      - 2
      - 0
    .max_flat_workgroup_size: 1024
    .name:           _ZN9rocsolver6v33100L8copy_matIfPfNS0_7no_maskEEEvNS0_17copymat_directionEiiT0_iilPT_T1_13rocblas_fill_17rocblas_diagonal_
    .private_segment_fixed_size: 0
    .sgpr_count:     19
    .sgpr_spill_count: 0
    .symbol:         _ZN9rocsolver6v33100L8copy_matIfPfNS0_7no_maskEEEvNS0_17copymat_directionEiiT0_iilPT_T1_13rocblas_fill_17rocblas_diagonal_.kd
    .uniform_work_group_size: 1
    .uses_dynamic_stack: false
    .vgpr_count:     7
    .vgpr_spill_count: 0
    .wavefront_size: 32
    .workgroup_processor_mode: 1
  - .args:
      - .offset:         0
        .size:           4
        .value_kind:     by_value
      - .address_space:  global
        .offset:         8
        .size:           8
        .value_kind:     global_buffer
      - .offset:         16
        .size:           8
        .value_kind:     by_value
      - .address_space:  global
        .offset:         24
        .size:           8
        .value_kind:     global_buffer
      - .offset:         32
        .size:           4
        .value_kind:     by_value
      - .offset:         36
        .size:           4
        .value_kind:     by_value
      - .offset:         40
        .size:           8
        .value_kind:     by_value
      - .offset:         48
        .size:           4
        .value_kind:     by_value
      - .address_space:  global
        .offset:         56
        .size:           8
        .value_kind:     global_buffer
      - .address_space:  global
        .offset:         64
        .size:           8
        .value_kind:     global_buffer
      - .offset:         72
        .size:           4
        .value_kind:     hidden_block_count_x
      - .offset:         76
        .size:           4
        .value_kind:     hidden_block_count_y
      - .offset:         80
        .size:           4
        .value_kind:     hidden_block_count_z
      - .offset:         84
        .size:           2
        .value_kind:     hidden_group_size_x
      - .offset:         86
        .size:           2
        .value_kind:     hidden_group_size_y
      - .offset:         88
        .size:           2
        .value_kind:     hidden_group_size_z
      - .offset:         90
        .size:           2
        .value_kind:     hidden_remainder_x
      - .offset:         92
        .size:           2
        .value_kind:     hidden_remainder_y
      - .offset:         94
        .size:           2
        .value_kind:     hidden_remainder_z
      - .offset:         112
        .size:           8
        .value_kind:     hidden_global_offset_x
      - .offset:         120
        .size:           8
        .value_kind:     hidden_global_offset_y
      - .offset:         128
        .size:           8
        .value_kind:     hidden_global_offset_z
      - .offset:         136
        .size:           2
        .value_kind:     hidden_grid_dims
      - .offset:         152
        .size:           8
        .value_kind:     hidden_hostcall_buffer
    .group_segment_fixed_size: 0
    .kernarg_segment_align: 8
    .kernarg_segment_size: 328
    .language:       OpenCL C
    .language_version:
      - 2
      - 0
    .max_flat_workgroup_size: 256
    .name:           _ZN9rocsolver6v33100L11stedcx_sortIffPfEEviPT0_lT1_iiliPiS6_
    .private_segment_fixed_size: 64
    .sgpr_count:     60
    .sgpr_spill_count: 0
    .symbol:         _ZN9rocsolver6v33100L11stedcx_sortIffPfEEviPT0_lT1_iiliPiS6_.kd
    .uniform_work_group_size: 1
    .uses_dynamic_stack: false
    .vgpr_count:     50
    .vgpr_spill_count: 0
    .wavefront_size: 32
    .workgroup_processor_mode: 1
  - .args:
      - .address_space:  global
        .offset:         0
        .size:           8
        .value_kind:     global_buffer
      - .offset:         8
        .size:           8
        .value_kind:     by_value
      - .offset:         16
        .size:           4
        .value_kind:     by_value
      - .offset:         20
        .size:           4
        .value_kind:     by_value
      - .offset:         24
        .size:           4
        .value_kind:     hidden_block_count_x
      - .offset:         28
        .size:           4
        .value_kind:     hidden_block_count_y
      - .offset:         32
        .size:           4
        .value_kind:     hidden_block_count_z
      - .offset:         36
        .size:           2
        .value_kind:     hidden_group_size_x
      - .offset:         38
        .size:           2
        .value_kind:     hidden_group_size_y
      - .offset:         40
        .size:           2
        .value_kind:     hidden_group_size_z
      - .offset:         42
        .size:           2
        .value_kind:     hidden_remainder_x
      - .offset:         44
        .size:           2
        .value_kind:     hidden_remainder_y
      - .offset:         46
        .size:           2
        .value_kind:     hidden_remainder_z
      - .offset:         64
        .size:           8
        .value_kind:     hidden_global_offset_x
      - .offset:         72
        .size:           8
        .value_kind:     hidden_global_offset_y
      - .offset:         80
        .size:           8
        .value_kind:     hidden_global_offset_z
      - .offset:         88
        .size:           2
        .value_kind:     hidden_grid_dims
    .group_segment_fixed_size: 0
    .kernarg_segment_align: 8
    .kernarg_segment_size: 280
    .language:       OpenCL C
    .language_version:
      - 2
      - 0
    .max_flat_workgroup_size: 1024
    .name:           _ZN9rocsolver6v33100L16reset_batch_infoIdiiPdEEvT2_lT0_T1_
    .private_segment_fixed_size: 0
    .sgpr_count:     14
    .sgpr_spill_count: 0
    .symbol:         _ZN9rocsolver6v33100L16reset_batch_infoIdiiPdEEvT2_lT0_T1_.kd
    .uniform_work_group_size: 1
    .uses_dynamic_stack: false
    .vgpr_count:     4
    .vgpr_spill_count: 0
    .wavefront_size: 32
    .workgroup_processor_mode: 1
  - .args:
      - .offset:         0
        .size:           4
        .value_kind:     by_value
      - .offset:         8
        .size:           8
        .value_kind:     by_value
      - .offset:         16
        .size:           8
        .value_kind:     by_value
      - .address_space:  global
        .offset:         24
        .size:           8
        .value_kind:     global_buffer
      - .offset:         32
        .size:           8
        .value_kind:     by_value
      - .address_space:  global
        .offset:         40
        .size:           8
        .value_kind:     global_buffer
      - .address_space:  global
        .offset:         48
        .size:           8
        .value_kind:     global_buffer
      - .offset:         56
        .size:           8
        .value_kind:     by_value
    .group_segment_fixed_size: 0
    .kernarg_segment_align: 8
    .kernarg_segment_size: 64
    .language:       OpenCL C
    .language_version:
      - 2
      - 0
    .max_flat_workgroup_size: 1024
    .name:           _ZN9rocsolver6v33100L19stedcx_case1_kernelIdEEv15rocblas_erange_T_S3_PS3_lPiS4_l
    .private_segment_fixed_size: 0
    .sgpr_count:     19
    .sgpr_spill_count: 0
    .symbol:         _ZN9rocsolver6v33100L19stedcx_case1_kernelIdEEv15rocblas_erange_T_S3_PS3_lPiS4_l.kd
    .uniform_work_group_size: 1
    .uses_dynamic_stack: false
    .vgpr_count:     4
    .vgpr_spill_count: 0
    .wavefront_size: 32
    .workgroup_processor_mode: 1
  - .args:
      - .offset:         0
        .size:           4
        .value_kind:     by_value
      - .offset:         4
        .size:           4
        .value_kind:     by_value
      - .address_space:  global
        .offset:         8
        .size:           8
        .value_kind:     global_buffer
      - .offset:         16
        .size:           4
        .value_kind:     by_value
      - .offset:         20
        .size:           4
        .value_kind:     by_value
      - .offset:         24
        .size:           8
        .value_kind:     by_value
      - .offset:         32
        .size:           4
        .value_kind:     hidden_block_count_x
      - .offset:         36
        .size:           4
        .value_kind:     hidden_block_count_y
      - .offset:         40
        .size:           4
        .value_kind:     hidden_block_count_z
      - .offset:         44
        .size:           2
        .value_kind:     hidden_group_size_x
      - .offset:         46
        .size:           2
        .value_kind:     hidden_group_size_y
      - .offset:         48
        .size:           2
        .value_kind:     hidden_group_size_z
      - .offset:         50
        .size:           2
        .value_kind:     hidden_remainder_x
      - .offset:         52
        .size:           2
        .value_kind:     hidden_remainder_y
      - .offset:         54
        .size:           2
        .value_kind:     hidden_remainder_z
      - .offset:         72
        .size:           8
        .value_kind:     hidden_global_offset_x
      - .offset:         80
        .size:           8
        .value_kind:     hidden_global_offset_y
      - .offset:         88
        .size:           8
        .value_kind:     hidden_global_offset_z
      - .offset:         96
        .size:           2
        .value_kind:     hidden_grid_dims
    .group_segment_fixed_size: 0
    .kernarg_segment_align: 8
    .kernarg_segment_size: 288
    .language:       OpenCL C
    .language_version:
      - 2
      - 0
    .max_flat_workgroup_size: 1024
    .name:           _ZN9rocsolver6v33100L10init_identIdPdEEviiT0_iil
    .private_segment_fixed_size: 0
    .sgpr_count:     11
    .sgpr_spill_count: 0
    .symbol:         _ZN9rocsolver6v33100L10init_identIdPdEEviiT0_iil.kd
    .uniform_work_group_size: 1
    .uses_dynamic_stack: false
    .vgpr_count:     6
    .vgpr_spill_count: 0
    .wavefront_size: 32
    .workgroup_processor_mode: 1
  - .args:
      - .offset:         0
        .size:           4
        .value_kind:     by_value
      - .offset:         4
        .size:           4
        .value_kind:     by_value
      - .offset:         8
        .size:           8
        .value_kind:     by_value
      - .offset:         16
        .size:           8
        .value_kind:     by_value
      - .offset:         24
        .size:           4
        .value_kind:     by_value
      - .offset:         28
        .size:           4
        .value_kind:     by_value
      - .address_space:  global
        .offset:         32
        .size:           8
        .value_kind:     global_buffer
      - .offset:         40
        .size:           8
        .value_kind:     by_value
      - .address_space:  global
        .offset:         48
        .size:           8
        .value_kind:     global_buffer
      - .offset:         56
        .size:           8
        .value_kind:     by_value
      - .address_space:  global
        .offset:         64
        .size:           8
        .value_kind:     global_buffer
      - .offset:         72
        .size:           8
        .value_kind:     by_value
      - .address_space:  global
        .offset:         80
        .size:           8
        .value_kind:     global_buffer
      - .address_space:  global
        .offset:         88
        .size:           8
        .value_kind:     global_buffer
      - .offset:         96
        .size:           8
        .value_kind:     by_value
      - .offset:         104
        .size:           8
        .value_kind:     by_value
      - .offset:         112
        .size:           4
        .value_kind:     hidden_block_count_x
      - .offset:         116
        .size:           4
        .value_kind:     hidden_block_count_y
      - .offset:         120
        .size:           4
        .value_kind:     hidden_block_count_z
      - .offset:         124
        .size:           2
        .value_kind:     hidden_group_size_x
      - .offset:         126
        .size:           2
        .value_kind:     hidden_group_size_y
      - .offset:         128
        .size:           2
        .value_kind:     hidden_group_size_z
      - .offset:         130
        .size:           2
        .value_kind:     hidden_remainder_x
      - .offset:         132
        .size:           2
        .value_kind:     hidden_remainder_y
      - .offset:         134
        .size:           2
        .value_kind:     hidden_remainder_z
      - .offset:         152
        .size:           8
        .value_kind:     hidden_global_offset_x
      - .offset:         160
        .size:           8
        .value_kind:     hidden_global_offset_y
      - .offset:         168
        .size:           8
        .value_kind:     hidden_global_offset_z
      - .offset:         176
        .size:           2
        .value_kind:     hidden_grid_dims
    .group_segment_fixed_size: 3072
    .kernarg_segment_align: 8
    .kernarg_segment_size: 368
    .language:       OpenCL C
    .language_version:
      - 2
      - 0
    .max_flat_workgroup_size: 256
    .name:           _ZN9rocsolver6v33100L19stedcx_split_kernelIdEEv15rocblas_erange_iT_S3_iiPS3_lS4_lS4_lPiS4_S3_S3_
    .private_segment_fixed_size: 0
    .sgpr_count:     59
    .sgpr_spill_count: 0
    .symbol:         _ZN9rocsolver6v33100L19stedcx_split_kernelIdEEv15rocblas_erange_iT_S3_iiPS3_lS4_lS4_lPiS4_S3_S3_.kd
    .uniform_work_group_size: 1
    .uses_dynamic_stack: false
    .vgpr_count:     28
    .vgpr_spill_count: 0
    .wavefront_size: 32
    .workgroup_processor_mode: 1
  - .args:
      - .offset:         0
        .size:           4
        .value_kind:     by_value
      - .address_space:  global
        .offset:         8
        .size:           8
        .value_kind:     global_buffer
      - .offset:         16
        .size:           8
        .value_kind:     by_value
      - .address_space:  global
        .offset:         24
        .size:           8
        .value_kind:     global_buffer
      - .offset:         32
        .size:           8
        .value_kind:     by_value
      - .address_space:  global
        .offset:         40
        .size:           8
        .value_kind:     global_buffer
    .group_segment_fixed_size: 0
    .kernarg_segment_align: 8
    .kernarg_segment_size: 48
    .language:       OpenCL C
    .language_version:
      - 2
      - 0
    .max_flat_workgroup_size: 512
    .name:           _ZN9rocsolver6v33100L20stedcx_divide_kernelIdEEviPT_lS3_lPi
    .private_segment_fixed_size: 0
    .sgpr_count:     30
    .sgpr_spill_count: 0
    .symbol:         _ZN9rocsolver6v33100L20stedcx_divide_kernelIdEEviPT_lS3_lPi.kd
    .uniform_work_group_size: 1
    .uses_dynamic_stack: false
    .vgpr_count:     19
    .vgpr_spill_count: 0
    .wavefront_size: 32
    .workgroup_processor_mode: 1
  - .args:
      - .offset:         0
        .size:           4
        .value_kind:     by_value
      - .address_space:  global
        .offset:         8
        .size:           8
        .value_kind:     global_buffer
      - .offset:         16
        .size:           8
        .value_kind:     by_value
      - .address_space:  global
        .offset:         24
        .size:           8
        .value_kind:     global_buffer
      - .offset:         32
        .size:           8
        .value_kind:     by_value
      - .address_space:  global
        .offset:         40
        .size:           8
        .value_kind:     global_buffer
      - .offset:         48
        .size:           4
        .value_kind:     by_value
      - .offset:         52
        .size:           4
        .value_kind:     by_value
      - .offset:         56
        .size:           8
        .value_kind:     by_value
      - .address_space:  global
        .offset:         64
        .size:           8
        .value_kind:     global_buffer
      - .address_space:  global
        .offset:         72
        .size:           8
        .value_kind:     global_buffer
      - .address_space:  global
        .offset:         80
        .size:           8
        .value_kind:     global_buffer
      - .offset:         88
        .size:           8
        .value_kind:     by_value
      - .offset:         96
        .size:           8
        .value_kind:     by_value
      - .offset:         104
        .size:           8
        .value_kind:     by_value
      - .offset:         112
        .size:           4
        .value_kind:     hidden_block_count_x
      - .offset:         116
        .size:           4
        .value_kind:     hidden_block_count_y
      - .offset:         120
        .size:           4
        .value_kind:     hidden_block_count_z
      - .offset:         124
        .size:           2
        .value_kind:     hidden_group_size_x
      - .offset:         126
        .size:           2
        .value_kind:     hidden_group_size_y
      - .offset:         128
        .size:           2
        .value_kind:     hidden_group_size_z
      - .offset:         130
        .size:           2
        .value_kind:     hidden_remainder_x
      - .offset:         132
        .size:           2
        .value_kind:     hidden_remainder_y
      - .offset:         134
        .size:           2
        .value_kind:     hidden_remainder_z
      - .offset:         152
        .size:           8
        .value_kind:     hidden_global_offset_x
      - .offset:         160
        .size:           8
        .value_kind:     hidden_global_offset_y
      - .offset:         168
        .size:           8
        .value_kind:     hidden_global_offset_z
      - .offset:         176
        .size:           2
        .value_kind:     hidden_grid_dims
    .group_segment_fixed_size: 48
    .kernarg_segment_align: 8
    .kernarg_segment_size: 368
    .language:       OpenCL C
    .language_version:
      - 2
      - 0
    .max_flat_workgroup_size: 512
    .name:           _ZN9rocsolver6v33100L19stedcx_solve_kernelIdEEviPT_lS3_lS3_iilPiS3_S4_S2_S2_S2_
    .private_segment_fixed_size: 0
    .sgpr_count:     107
    .sgpr_spill_count: 5
    .symbol:         _ZN9rocsolver6v33100L19stedcx_solve_kernelIdEEviPT_lS3_lS3_iilPiS3_S4_S2_S2_S2_.kd
    .uniform_work_group_size: 1
    .uses_dynamic_stack: false
    .vgpr_count:     74
    .vgpr_spill_count: 0
    .wavefront_size: 32
    .workgroup_processor_mode: 1
  - .args:
      - .offset:         0
        .size:           4
        .value_kind:     by_value
      - .offset:         4
        .size:           4
        .value_kind:     by_value
      - .address_space:  global
        .offset:         8
        .size:           8
        .value_kind:     global_buffer
      - .offset:         16
        .size:           8
        .value_kind:     by_value
      - .address_space:  global
        .offset:         24
        .size:           8
        .value_kind:     global_buffer
      - .offset:         32
        .size:           8
        .value_kind:     by_value
      - .address_space:  global
        .offset:         40
        .size:           8
        .value_kind:     global_buffer
      - .offset:         48
        .size:           4
        .value_kind:     by_value
      - .offset:         52
        .size:           4
        .value_kind:     by_value
      - .offset:         56
        .size:           8
        .value_kind:     by_value
      - .address_space:  global
        .offset:         64
        .size:           8
        .value_kind:     global_buffer
      - .address_space:  global
        .offset:         72
        .size:           8
        .value_kind:     global_buffer
      - .address_space:  global
        .offset:         80
        .size:           8
        .value_kind:     global_buffer
      - .offset:         88
        .size:           8
        .value_kind:     by_value
      - .offset:         96
        .size:           4
        .value_kind:     hidden_block_count_x
      - .offset:         100
        .size:           4
        .value_kind:     hidden_block_count_y
      - .offset:         104
        .size:           4
        .value_kind:     hidden_block_count_z
      - .offset:         108
        .size:           2
        .value_kind:     hidden_group_size_x
      - .offset:         110
        .size:           2
        .value_kind:     hidden_group_size_y
      - .offset:         112
        .size:           2
        .value_kind:     hidden_group_size_z
      - .offset:         114
        .size:           2
        .value_kind:     hidden_remainder_x
      - .offset:         116
        .size:           2
        .value_kind:     hidden_remainder_y
      - .offset:         118
        .size:           2
        .value_kind:     hidden_remainder_z
      - .offset:         136
        .size:           8
        .value_kind:     hidden_global_offset_x
      - .offset:         144
        .size:           8
        .value_kind:     hidden_global_offset_y
      - .offset:         152
        .size:           8
        .value_kind:     hidden_global_offset_z
      - .offset:         160
        .size:           2
        .value_kind:     hidden_grid_dims
      - .offset:         216
        .size:           4
        .value_kind:     hidden_dynamic_lds_size
    .group_segment_fixed_size: 0
    .kernarg_segment_align: 8
    .kernarg_segment_size: 352
    .language:       OpenCL C
    .language_version:
      - 2
      - 0
    .max_flat_workgroup_size: 512
    .name:           _ZN9rocsolver6v33100L26stedcx_mergePrepare_kernelIdEEviiPT_lS3_lS3_iilS3_S3_PiS2_
    .private_segment_fixed_size: 0
    .sgpr_count:     74
    .sgpr_spill_count: 0
    .symbol:         _ZN9rocsolver6v33100L26stedcx_mergePrepare_kernelIdEEviiPT_lS3_lS3_iilS3_S3_PiS2_.kd
    .uniform_work_group_size: 1
    .uses_dynamic_stack: false
    .vgpr_count:     40
    .vgpr_spill_count: 0
    .wavefront_size: 32
    .workgroup_processor_mode: 1
  - .args:
      - .offset:         0
        .size:           4
        .value_kind:     by_value
      - .offset:         4
        .size:           4
        .value_kind:     by_value
      - .address_space:  global
        .offset:         8
        .size:           8
        .value_kind:     global_buffer
      - .offset:         16
        .size:           8
        .value_kind:     by_value
      - .address_space:  global
        .offset:         24
        .size:           8
        .value_kind:     global_buffer
      - .offset:         32
        .size:           8
        .value_kind:     by_value
      - .address_space:  global
        .offset:         40
        .size:           8
        .value_kind:     global_buffer
      - .address_space:  global
        .offset:         48
        .size:           8
        .value_kind:     global_buffer
      - .address_space:  global
        .offset:         56
        .size:           8
        .value_kind:     global_buffer
      - .offset:         64
        .size:           8
        .value_kind:     by_value
      - .offset:         72
        .size:           8
        .value_kind:     by_value
      - .offset:         80
        .size:           8
        .value_kind:     by_value
      - .offset:         88
        .size:           4
        .value_kind:     hidden_block_count_x
      - .offset:         92
        .size:           4
        .value_kind:     hidden_block_count_y
      - .offset:         96
        .size:           4
        .value_kind:     hidden_block_count_z
      - .offset:         100
        .size:           2
        .value_kind:     hidden_group_size_x
      - .offset:         102
        .size:           2
        .value_kind:     hidden_group_size_y
      - .offset:         104
        .size:           2
        .value_kind:     hidden_group_size_z
      - .offset:         106
        .size:           2
        .value_kind:     hidden_remainder_x
      - .offset:         108
        .size:           2
        .value_kind:     hidden_remainder_y
      - .offset:         110
        .size:           2
        .value_kind:     hidden_remainder_z
      - .offset:         128
        .size:           8
        .value_kind:     hidden_global_offset_x
      - .offset:         136
        .size:           8
        .value_kind:     hidden_global_offset_y
      - .offset:         144
        .size:           8
        .value_kind:     hidden_global_offset_z
      - .offset:         152
        .size:           2
        .value_kind:     hidden_grid_dims
    .group_segment_fixed_size: 0
    .kernarg_segment_align: 8
    .kernarg_segment_size: 344
    .language:       OpenCL C
    .language_version:
      - 2
      - 0
    .max_flat_workgroup_size: 512
    .name:           _ZN9rocsolver6v33100L25stedcx_mergeValues_kernelIdEEviiPT_lS3_lS3_S3_PiS2_S2_S2_
    .private_segment_fixed_size: 0
    .sgpr_count:     107
    .sgpr_spill_count: 3
    .symbol:         _ZN9rocsolver6v33100L25stedcx_mergeValues_kernelIdEEviiPT_lS3_lS3_S3_PiS2_S2_S2_.kd
    .uniform_work_group_size: 1
    .uses_dynamic_stack: false
    .vgpr_count:     78
    .vgpr_spill_count: 0
    .wavefront_size: 32
    .workgroup_processor_mode: 1
  - .args:
      - .offset:         0
        .size:           4
        .value_kind:     by_value
      - .offset:         4
        .size:           4
        .value_kind:     by_value
      - .address_space:  global
        .offset:         8
        .size:           8
        .value_kind:     global_buffer
      - .offset:         16
        .size:           8
        .value_kind:     by_value
      - .address_space:  global
        .offset:         24
        .size:           8
        .value_kind:     global_buffer
      - .offset:         32
        .size:           8
        .value_kind:     by_value
      - .address_space:  global
        .offset:         40
        .size:           8
        .value_kind:     global_buffer
      - .offset:         48
        .size:           4
        .value_kind:     by_value
      - .offset:         52
        .size:           4
        .value_kind:     by_value
      - .offset:         56
        .size:           8
        .value_kind:     by_value
      - .address_space:  global
        .offset:         64
        .size:           8
        .value_kind:     global_buffer
      - .address_space:  global
        .offset:         72
        .size:           8
        .value_kind:     global_buffer
      - .address_space:  global
        .offset:         80
        .size:           8
        .value_kind:     global_buffer
      - .offset:         88
        .size:           4
        .value_kind:     hidden_block_count_x
      - .offset:         92
        .size:           4
        .value_kind:     hidden_block_count_y
      - .offset:         96
        .size:           4
        .value_kind:     hidden_block_count_z
      - .offset:         100
        .size:           2
        .value_kind:     hidden_group_size_x
      - .offset:         102
        .size:           2
        .value_kind:     hidden_group_size_y
      - .offset:         104
        .size:           2
        .value_kind:     hidden_group_size_z
      - .offset:         106
        .size:           2
        .value_kind:     hidden_remainder_x
      - .offset:         108
        .size:           2
        .value_kind:     hidden_remainder_y
      - .offset:         110
        .size:           2
        .value_kind:     hidden_remainder_z
      - .offset:         128
        .size:           8
        .value_kind:     hidden_global_offset_x
      - .offset:         136
        .size:           8
        .value_kind:     hidden_global_offset_y
      - .offset:         144
        .size:           8
        .value_kind:     hidden_global_offset_z
      - .offset:         152
        .size:           2
        .value_kind:     hidden_grid_dims
      - .offset:         208
        .size:           4
        .value_kind:     hidden_dynamic_lds_size
    .group_segment_fixed_size: 0
    .kernarg_segment_align: 8
    .kernarg_segment_size: 344
    .language:       OpenCL C
    .language_version:
      - 2
      - 0
    .max_flat_workgroup_size: 512
    .name:           _ZN9rocsolver6v33100L26stedcx_mergeVectors_kernelILb0EdEEviiPT0_lS3_lS3_iilS3_S3_Pi
    .private_segment_fixed_size: 0
    .sgpr_count:     60
    .sgpr_spill_count: 0
    .symbol:         _ZN9rocsolver6v33100L26stedcx_mergeVectors_kernelILb0EdEEviiPT0_lS3_lS3_iilS3_S3_Pi.kd
    .uniform_work_group_size: 1
    .uses_dynamic_stack: false
    .vgpr_count:     30
    .vgpr_spill_count: 0
    .wavefront_size: 32
    .workgroup_processor_mode: 1
  - .args:
      - .offset:         0
        .size:           4
        .value_kind:     by_value
      - .offset:         4
        .size:           4
        .value_kind:     by_value
      - .address_space:  global
        .offset:         8
        .size:           8
        .value_kind:     global_buffer
      - .offset:         16
        .size:           8
        .value_kind:     by_value
      - .address_space:  global
        .offset:         24
        .size:           8
        .value_kind:     global_buffer
      - .offset:         32
        .size:           4
        .value_kind:     by_value
      - .offset:         36
        .size:           4
        .value_kind:     by_value
      - .offset:         40
        .size:           8
        .value_kind:     by_value
      - .address_space:  global
        .offset:         48
        .size:           8
        .value_kind:     global_buffer
      - .address_space:  global
        .offset:         56
        .size:           8
        .value_kind:     global_buffer
      - .address_space:  global
        .offset:         64
        .size:           8
        .value_kind:     global_buffer
      - .offset:         72
        .size:           4
        .value_kind:     hidden_block_count_x
      - .offset:         76
        .size:           4
        .value_kind:     hidden_block_count_y
      - .offset:         80
        .size:           4
        .value_kind:     hidden_block_count_z
      - .offset:         84
        .size:           2
        .value_kind:     hidden_group_size_x
      - .offset:         86
        .size:           2
        .value_kind:     hidden_group_size_y
      - .offset:         88
        .size:           2
        .value_kind:     hidden_group_size_z
      - .offset:         90
        .size:           2
        .value_kind:     hidden_remainder_x
      - .offset:         92
        .size:           2
        .value_kind:     hidden_remainder_y
      - .offset:         94
        .size:           2
        .value_kind:     hidden_remainder_z
      - .offset:         112
        .size:           8
        .value_kind:     hidden_global_offset_x
      - .offset:         120
        .size:           8
        .value_kind:     hidden_global_offset_y
      - .offset:         128
        .size:           8
        .value_kind:     hidden_global_offset_z
      - .offset:         136
        .size:           2
        .value_kind:     hidden_grid_dims
    .group_segment_fixed_size: 0
    .kernarg_segment_align: 8
    .kernarg_segment_size: 328
    .language:       OpenCL C
    .language_version:
      - 2
      - 0
    .max_flat_workgroup_size: 512
    .name:           _ZN9rocsolver6v33100L25stedcx_mergeUpdate_kernelIdEEviiPT_lS3_iilS3_S3_Pi
    .private_segment_fixed_size: 0
    .sgpr_count:     50
    .sgpr_spill_count: 0
    .symbol:         _ZN9rocsolver6v33100L25stedcx_mergeUpdate_kernelIdEEviiPT_lS3_iilS3_S3_Pi.kd
    .uniform_work_group_size: 1
    .uses_dynamic_stack: false
    .vgpr_count:     13
    .vgpr_spill_count: 0
    .wavefront_size: 32
    .workgroup_processor_mode: 1
  - .args:
      - .offset:         0
        .size:           4
        .value_kind:     by_value
      - .offset:         4
        .size:           4
        .value_kind:     by_value
      - .offset:         8
        .size:           4
        .value_kind:     by_value
      - .offset:         12
        .size:           4
        .value_kind:     by_value
      - .address_space:  global
        .offset:         16
        .size:           8
        .value_kind:     global_buffer
      - .offset:         24
        .size:           8
        .value_kind:     by_value
      - .address_space:  global
        .offset:         32
        .size:           8
        .value_kind:     global_buffer
      - .address_space:  global
        .offset:         40
        .size:           8
        .value_kind:     global_buffer
      - .offset:         48
        .size:           8
        .value_kind:     by_value
      - .address_space:  global
        .offset:         56
        .size:           8
        .value_kind:     global_buffer
      - .offset:         64
        .size:           4
        .value_kind:     by_value
      - .offset:         72
        .size:           8
        .value_kind:     by_value
      - .offset:         80
        .size:           4
        .value_kind:     by_value
      - .address_space:  global
        .offset:         88
        .size:           8
        .value_kind:     global_buffer
      - .address_space:  global
        .offset:         96
        .size:           8
        .value_kind:     global_buffer
      - .offset:         104
        .size:           8
        .value_kind:     by_value
      - .offset:         112
        .size:           4
        .value_kind:     hidden_block_count_x
      - .offset:         116
        .size:           4
        .value_kind:     hidden_block_count_y
      - .offset:         120
        .size:           4
        .value_kind:     hidden_block_count_z
      - .offset:         124
        .size:           2
        .value_kind:     hidden_group_size_x
      - .offset:         126
        .size:           2
        .value_kind:     hidden_group_size_y
      - .offset:         128
        .size:           2
        .value_kind:     hidden_group_size_z
      - .offset:         130
        .size:           2
        .value_kind:     hidden_remainder_x
      - .offset:         132
        .size:           2
        .value_kind:     hidden_remainder_y
      - .offset:         134
        .size:           2
        .value_kind:     hidden_remainder_z
      - .offset:         152
        .size:           8
        .value_kind:     hidden_global_offset_x
      - .offset:         160
        .size:           8
        .value_kind:     hidden_global_offset_y
      - .offset:         168
        .size:           8
        .value_kind:     hidden_global_offset_z
      - .offset:         176
        .size:           2
        .value_kind:     hidden_grid_dims
    .group_segment_fixed_size: 0
    .kernarg_segment_align: 8
    .kernarg_segment_size: 368
    .language:       OpenCL C
    .language_version:
      - 2
      - 0
    .max_flat_workgroup_size: 512
    .name:           _ZN9rocsolver6v33100L23stedcx_synthesis_kernelIdEEv15rocblas_erange_iiiPT_lPiS4_lS4_iliS5_S4_S3_
    .private_segment_fixed_size: 0
    .sgpr_count:     56
    .sgpr_spill_count: 0
    .symbol:         _ZN9rocsolver6v33100L23stedcx_synthesis_kernelIdEEv15rocblas_erange_iiiPT_lPiS4_lS4_iliS5_S4_S3_.kd
    .uniform_work_group_size: 1
    .uses_dynamic_stack: false
    .vgpr_count:     23
    .vgpr_spill_count: 0
    .wavefront_size: 32
    .workgroup_processor_mode: 1
  - .args:
      - .offset:         0
        .size:           4
        .value_kind:     by_value
      - .offset:         4
        .size:           4
        .value_kind:     by_value
      - .offset:         8
        .size:           4
        .value_kind:     by_value
      - .address_space:  global
        .offset:         16
        .size:           8
        .value_kind:     global_buffer
      - .offset:         24
        .size:           4
        .value_kind:     by_value
      - .offset:         28
        .size:           4
        .value_kind:     by_value
      - .offset:         32
        .size:           8
        .value_kind:     by_value
      - .address_space:  global
        .offset:         40
        .size:           8
        .value_kind:     global_buffer
      - .offset:         48
        .size:           1
        .value_kind:     by_value
      - .offset:         52
        .size:           4
        .value_kind:     by_value
      - .offset:         56
        .size:           4
        .value_kind:     by_value
      - .offset:         64
        .size:           4
        .value_kind:     hidden_block_count_x
      - .offset:         68
        .size:           4
        .value_kind:     hidden_block_count_y
      - .offset:         72
        .size:           4
        .value_kind:     hidden_block_count_z
      - .offset:         76
        .size:           2
        .value_kind:     hidden_group_size_x
      - .offset:         78
        .size:           2
        .value_kind:     hidden_group_size_y
      - .offset:         80
        .size:           2
        .value_kind:     hidden_group_size_z
      - .offset:         82
        .size:           2
        .value_kind:     hidden_remainder_x
      - .offset:         84
        .size:           2
        .value_kind:     hidden_remainder_y
      - .offset:         86
        .size:           2
        .value_kind:     hidden_remainder_z
      - .offset:         104
        .size:           8
        .value_kind:     hidden_global_offset_x
      - .offset:         112
        .size:           8
        .value_kind:     hidden_global_offset_y
      - .offset:         120
        .size:           8
        .value_kind:     hidden_global_offset_z
      - .offset:         128
        .size:           2
        .value_kind:     hidden_grid_dims
    .group_segment_fixed_size: 0
    .kernarg_segment_align: 8
    .kernarg_segment_size: 320
    .language:       OpenCL C
    .language_version:
      - 2
      - 0
    .max_flat_workgroup_size: 1024
    .name:           _ZN9rocsolver6v33100L8copy_matIdPdNS0_7no_maskEEEvNS0_17copymat_directionEiiT0_iilPT_T1_13rocblas_fill_17rocblas_diagonal_
    .private_segment_fixed_size: 0
    .sgpr_count:     19
    .sgpr_spill_count: 0
    .symbol:         _ZN9rocsolver6v33100L8copy_matIdPdNS0_7no_maskEEEvNS0_17copymat_directionEiiT0_iilPT_T1_13rocblas_fill_17rocblas_diagonal_.kd
    .uniform_work_group_size: 1
    .uses_dynamic_stack: false
    .vgpr_count:     7
    .vgpr_spill_count: 0
    .wavefront_size: 32
    .workgroup_processor_mode: 1
  - .args:
      - .offset:         0
        .size:           4
        .value_kind:     by_value
      - .address_space:  global
        .offset:         8
        .size:           8
        .value_kind:     global_buffer
      - .offset:         16
        .size:           8
        .value_kind:     by_value
      - .address_space:  global
        .offset:         24
        .size:           8
        .value_kind:     global_buffer
      - .offset:         32
        .size:           4
        .value_kind:     by_value
      - .offset:         36
        .size:           4
        .value_kind:     by_value
      - .offset:         40
        .size:           8
        .value_kind:     by_value
      - .offset:         48
        .size:           4
        .value_kind:     by_value
      - .address_space:  global
        .offset:         56
        .size:           8
        .value_kind:     global_buffer
      - .address_space:  global
        .offset:         64
        .size:           8
        .value_kind:     global_buffer
      - .offset:         72
        .size:           4
        .value_kind:     hidden_block_count_x
      - .offset:         76
        .size:           4
        .value_kind:     hidden_block_count_y
      - .offset:         80
        .size:           4
        .value_kind:     hidden_block_count_z
      - .offset:         84
        .size:           2
        .value_kind:     hidden_group_size_x
      - .offset:         86
        .size:           2
        .value_kind:     hidden_group_size_y
      - .offset:         88
        .size:           2
        .value_kind:     hidden_group_size_z
      - .offset:         90
        .size:           2
        .value_kind:     hidden_remainder_x
      - .offset:         92
        .size:           2
        .value_kind:     hidden_remainder_y
      - .offset:         94
        .size:           2
        .value_kind:     hidden_remainder_z
      - .offset:         112
        .size:           8
        .value_kind:     hidden_global_offset_x
      - .offset:         120
        .size:           8
        .value_kind:     hidden_global_offset_y
      - .offset:         128
        .size:           8
        .value_kind:     hidden_global_offset_z
      - .offset:         136
        .size:           2
        .value_kind:     hidden_grid_dims
      - .offset:         152
        .size:           8
        .value_kind:     hidden_hostcall_buffer
    .group_segment_fixed_size: 0
    .kernarg_segment_align: 8
    .kernarg_segment_size: 328
    .language:       OpenCL C
    .language_version:
      - 2
      - 0
    .max_flat_workgroup_size: 256
    .name:           _ZN9rocsolver6v33100L11stedcx_sortIddPdEEviPT0_lT1_iiliPiS6_
    .private_segment_fixed_size: 64
    .sgpr_count:     58
    .sgpr_spill_count: 0
    .symbol:         _ZN9rocsolver6v33100L11stedcx_sortIddPdEEviPT0_lT1_iiliPiS6_.kd
    .uniform_work_group_size: 1
    .uses_dynamic_stack: false
    .vgpr_count:     50
    .vgpr_spill_count: 0
    .wavefront_size: 32
    .workgroup_processor_mode: 1
  - .args:
      - .address_space:  global
        .offset:         0
        .size:           8
        .value_kind:     global_buffer
      - .offset:         8
        .size:           8
        .value_kind:     by_value
      - .offset:         16
        .size:           4
        .value_kind:     by_value
      - .offset:         20
        .size:           4
        .value_kind:     by_value
      - .offset:         24
        .size:           4
        .value_kind:     hidden_block_count_x
      - .offset:         28
        .size:           4
        .value_kind:     hidden_block_count_y
      - .offset:         32
        .size:           4
        .value_kind:     hidden_block_count_z
      - .offset:         36
        .size:           2
        .value_kind:     hidden_group_size_x
      - .offset:         38
        .size:           2
        .value_kind:     hidden_group_size_y
      - .offset:         40
        .size:           2
        .value_kind:     hidden_group_size_z
      - .offset:         42
        .size:           2
        .value_kind:     hidden_remainder_x
      - .offset:         44
        .size:           2
        .value_kind:     hidden_remainder_y
      - .offset:         46
        .size:           2
        .value_kind:     hidden_remainder_z
      - .offset:         64
        .size:           8
        .value_kind:     hidden_global_offset_x
      - .offset:         72
        .size:           8
        .value_kind:     hidden_global_offset_y
      - .offset:         80
        .size:           8
        .value_kind:     hidden_global_offset_z
      - .offset:         88
        .size:           2
        .value_kind:     hidden_grid_dims
    .group_segment_fixed_size: 0
    .kernarg_segment_align: 8
    .kernarg_segment_size: 280
    .language:       OpenCL C
    .language_version:
      - 2
      - 0
    .max_flat_workgroup_size: 1024
    .name:           _ZN9rocsolver6v33100L16reset_batch_infoI19rocblas_complex_numIfEiiPS3_EEvT2_lT0_T1_
    .private_segment_fixed_size: 0
    .sgpr_count:     14
    .sgpr_spill_count: 0
    .symbol:         _ZN9rocsolver6v33100L16reset_batch_infoI19rocblas_complex_numIfEiiPS3_EEvT2_lT0_T1_.kd
    .uniform_work_group_size: 1
    .uses_dynamic_stack: false
    .vgpr_count:     4
    .vgpr_spill_count: 0
    .wavefront_size: 32
    .workgroup_processor_mode: 1
  - .args:
      - .offset:         0
        .size:           4
        .value_kind:     by_value
      - .offset:         4
        .size:           4
        .value_kind:     by_value
      - .address_space:  global
        .offset:         8
        .size:           8
        .value_kind:     global_buffer
      - .offset:         16
        .size:           4
        .value_kind:     by_value
      - .offset:         20
        .size:           4
        .value_kind:     by_value
      - .offset:         24
        .size:           8
        .value_kind:     by_value
      - .offset:         32
        .size:           4
        .value_kind:     hidden_block_count_x
      - .offset:         36
        .size:           4
        .value_kind:     hidden_block_count_y
      - .offset:         40
        .size:           4
        .value_kind:     hidden_block_count_z
      - .offset:         44
        .size:           2
        .value_kind:     hidden_group_size_x
      - .offset:         46
        .size:           2
        .value_kind:     hidden_group_size_y
      - .offset:         48
        .size:           2
        .value_kind:     hidden_group_size_z
      - .offset:         50
        .size:           2
        .value_kind:     hidden_remainder_x
      - .offset:         52
        .size:           2
        .value_kind:     hidden_remainder_y
      - .offset:         54
        .size:           2
        .value_kind:     hidden_remainder_z
      - .offset:         72
        .size:           8
        .value_kind:     hidden_global_offset_x
      - .offset:         80
        .size:           8
        .value_kind:     hidden_global_offset_y
      - .offset:         88
        .size:           8
        .value_kind:     hidden_global_offset_z
      - .offset:         96
        .size:           2
        .value_kind:     hidden_grid_dims
    .group_segment_fixed_size: 0
    .kernarg_segment_align: 8
    .kernarg_segment_size: 288
    .language:       OpenCL C
    .language_version:
      - 2
      - 0
    .max_flat_workgroup_size: 1024
    .name:           _ZN9rocsolver6v33100L10init_identI19rocblas_complex_numIfEPS3_EEviiT0_iil
    .private_segment_fixed_size: 0
    .sgpr_count:     11
    .sgpr_spill_count: 0
    .symbol:         _ZN9rocsolver6v33100L10init_identI19rocblas_complex_numIfEPS3_EEviiT0_iil.kd
    .uniform_work_group_size: 1
    .uses_dynamic_stack: false
    .vgpr_count:     7
    .vgpr_spill_count: 0
    .wavefront_size: 32
    .workgroup_processor_mode: 1
  - .args:
      - .offset:         0
        .size:           4
        .value_kind:     by_value
      - .offset:         4
        .size:           4
        .value_kind:     by_value
      - .offset:         8
        .size:           4
        .value_kind:     by_value
      - .address_space:  global
        .offset:         16
        .size:           8
        .value_kind:     global_buffer
      - .offset:         24
        .size:           4
        .value_kind:     by_value
      - .offset:         28
        .size:           4
        .value_kind:     by_value
      - .offset:         32
        .size:           8
        .value_kind:     by_value
      - .address_space:  global
        .offset:         40
        .size:           8
        .value_kind:     global_buffer
      - .offset:         48
        .size:           4
        .value_kind:     by_value
      - .offset:         52
        .size:           4
        .value_kind:     by_value
      - .offset:         56
        .size:           4
        .value_kind:     hidden_block_count_x
      - .offset:         60
        .size:           4
        .value_kind:     hidden_block_count_y
      - .offset:         64
        .size:           4
        .value_kind:     hidden_block_count_z
      - .offset:         68
        .size:           2
        .value_kind:     hidden_group_size_x
      - .offset:         70
        .size:           2
        .value_kind:     hidden_group_size_y
      - .offset:         72
        .size:           2
        .value_kind:     hidden_group_size_z
      - .offset:         74
        .size:           2
        .value_kind:     hidden_remainder_x
      - .offset:         76
        .size:           2
        .value_kind:     hidden_remainder_y
      - .offset:         78
        .size:           2
        .value_kind:     hidden_remainder_z
      - .offset:         96
        .size:           8
        .value_kind:     hidden_global_offset_x
      - .offset:         104
        .size:           8
        .value_kind:     hidden_global_offset_y
      - .offset:         112
        .size:           8
        .value_kind:     hidden_global_offset_z
      - .offset:         120
        .size:           2
        .value_kind:     hidden_grid_dims
    .group_segment_fixed_size: 0
    .kernarg_segment_align: 8
    .kernarg_segment_size: 312
    .language:       OpenCL C
    .language_version:
      - 2
      - 0
    .max_flat_workgroup_size: 1024
    .name:           _ZN9rocsolver6v33100L8copy_matI19rocblas_complex_numIfEfLb1EPS3_TnNSt9enable_ifIX18rocblas_is_complexIT_EEiE4typeELi0EEEvNS0_17copymat_directionEiiT2_iilPT0_13rocblas_fill_17rocblas_diagonal_
    .private_segment_fixed_size: 0
    .sgpr_count:     20
    .sgpr_spill_count: 0
    .symbol:         _ZN9rocsolver6v33100L8copy_matI19rocblas_complex_numIfEfLb1EPS3_TnNSt9enable_ifIX18rocblas_is_complexIT_EEiE4typeELi0EEEvNS0_17copymat_directionEiiT2_iilPT0_13rocblas_fill_17rocblas_diagonal_.kd
    .uniform_work_group_size: 1
    .uses_dynamic_stack: false
    .vgpr_count:     7
    .vgpr_spill_count: 0
    .wavefront_size: 32
    .workgroup_processor_mode: 1
  - .args:
      - .offset:         0
        .size:           4
        .value_kind:     by_value
      - .offset:         4
        .size:           4
        .value_kind:     by_value
      - .offset:         8
        .size:           4
        .value_kind:     by_value
      - .address_space:  global
        .offset:         16
        .size:           8
        .value_kind:     global_buffer
      - .offset:         24
        .size:           4
        .value_kind:     by_value
      - .offset:         28
        .size:           4
        .value_kind:     by_value
      - .offset:         32
        .size:           8
        .value_kind:     by_value
      - .address_space:  global
        .offset:         40
        .size:           8
        .value_kind:     global_buffer
      - .offset:         48
        .size:           4
        .value_kind:     by_value
      - .offset:         52
        .size:           4
        .value_kind:     by_value
      - .offset:         56
        .size:           4
        .value_kind:     hidden_block_count_x
      - .offset:         60
        .size:           4
        .value_kind:     hidden_block_count_y
      - .offset:         64
        .size:           4
        .value_kind:     hidden_block_count_z
      - .offset:         68
        .size:           2
        .value_kind:     hidden_group_size_x
      - .offset:         70
        .size:           2
        .value_kind:     hidden_group_size_y
      - .offset:         72
        .size:           2
        .value_kind:     hidden_group_size_z
      - .offset:         74
        .size:           2
        .value_kind:     hidden_remainder_x
      - .offset:         76
        .size:           2
        .value_kind:     hidden_remainder_y
      - .offset:         78
        .size:           2
        .value_kind:     hidden_remainder_z
      - .offset:         96
        .size:           8
        .value_kind:     hidden_global_offset_x
      - .offset:         104
        .size:           8
        .value_kind:     hidden_global_offset_y
      - .offset:         112
        .size:           8
        .value_kind:     hidden_global_offset_z
      - .offset:         120
        .size:           2
        .value_kind:     hidden_grid_dims
    .group_segment_fixed_size: 0
    .kernarg_segment_align: 8
    .kernarg_segment_size: 312
    .language:       OpenCL C
    .language_version:
      - 2
      - 0
    .max_flat_workgroup_size: 1024
    .name:           _ZN9rocsolver6v33100L8copy_matI19rocblas_complex_numIfEfLb0EPS3_TnNSt9enable_ifIX18rocblas_is_complexIT_EEiE4typeELi0EEEvNS0_17copymat_directionEiiT2_iilPT0_13rocblas_fill_17rocblas_diagonal_
    .private_segment_fixed_size: 0
    .sgpr_count:     22
    .sgpr_spill_count: 0
    .symbol:         _ZN9rocsolver6v33100L8copy_matI19rocblas_complex_numIfEfLb0EPS3_TnNSt9enable_ifIX18rocblas_is_complexIT_EEiE4typeELi0EEEvNS0_17copymat_directionEiiT2_iilPT0_13rocblas_fill_17rocblas_diagonal_.kd
    .uniform_work_group_size: 1
    .uses_dynamic_stack: false
    .vgpr_count:     8
    .vgpr_spill_count: 0
    .wavefront_size: 32
    .workgroup_processor_mode: 1
  - .args:
      - .offset:         0
        .size:           4
        .value_kind:     by_value
      - .address_space:  global
        .offset:         8
        .size:           8
        .value_kind:     global_buffer
      - .offset:         16
        .size:           8
        .value_kind:     by_value
      - .address_space:  global
        .offset:         24
        .size:           8
        .value_kind:     global_buffer
      - .offset:         32
        .size:           4
        .value_kind:     by_value
      - .offset:         36
        .size:           4
        .value_kind:     by_value
      - .offset:         40
        .size:           8
        .value_kind:     by_value
      - .offset:         48
        .size:           4
        .value_kind:     by_value
      - .address_space:  global
        .offset:         56
        .size:           8
        .value_kind:     global_buffer
      - .address_space:  global
        .offset:         64
        .size:           8
        .value_kind:     global_buffer
      - .offset:         72
        .size:           4
        .value_kind:     hidden_block_count_x
      - .offset:         76
        .size:           4
        .value_kind:     hidden_block_count_y
      - .offset:         80
        .size:           4
        .value_kind:     hidden_block_count_z
      - .offset:         84
        .size:           2
        .value_kind:     hidden_group_size_x
      - .offset:         86
        .size:           2
        .value_kind:     hidden_group_size_y
      - .offset:         88
        .size:           2
        .value_kind:     hidden_group_size_z
      - .offset:         90
        .size:           2
        .value_kind:     hidden_remainder_x
      - .offset:         92
        .size:           2
        .value_kind:     hidden_remainder_y
      - .offset:         94
        .size:           2
        .value_kind:     hidden_remainder_z
      - .offset:         112
        .size:           8
        .value_kind:     hidden_global_offset_x
      - .offset:         120
        .size:           8
        .value_kind:     hidden_global_offset_y
      - .offset:         128
        .size:           8
        .value_kind:     hidden_global_offset_z
      - .offset:         136
        .size:           2
        .value_kind:     hidden_grid_dims
      - .offset:         152
        .size:           8
        .value_kind:     hidden_hostcall_buffer
    .group_segment_fixed_size: 0
    .kernarg_segment_align: 8
    .kernarg_segment_size: 328
    .language:       OpenCL C
    .language_version:
      - 2
      - 0
    .max_flat_workgroup_size: 256
    .name:           _ZN9rocsolver6v33100L11stedcx_sortI19rocblas_complex_numIfEfPS3_EEviPT0_lT1_iiliPiS8_
    .private_segment_fixed_size: 64
    .sgpr_count:     60
    .sgpr_spill_count: 0
    .symbol:         _ZN9rocsolver6v33100L11stedcx_sortI19rocblas_complex_numIfEfPS3_EEviPT0_lT1_iiliPiS8_.kd
    .uniform_work_group_size: 1
    .uses_dynamic_stack: false
    .vgpr_count:     50
    .vgpr_spill_count: 0
    .wavefront_size: 32
    .workgroup_processor_mode: 1
  - .args:
      - .address_space:  global
        .offset:         0
        .size:           8
        .value_kind:     global_buffer
      - .offset:         8
        .size:           8
        .value_kind:     by_value
      - .offset:         16
        .size:           4
        .value_kind:     by_value
      - .offset:         20
        .size:           4
        .value_kind:     by_value
      - .offset:         24
        .size:           4
        .value_kind:     hidden_block_count_x
      - .offset:         28
        .size:           4
        .value_kind:     hidden_block_count_y
      - .offset:         32
        .size:           4
        .value_kind:     hidden_block_count_z
      - .offset:         36
        .size:           2
        .value_kind:     hidden_group_size_x
      - .offset:         38
        .size:           2
        .value_kind:     hidden_group_size_y
      - .offset:         40
        .size:           2
        .value_kind:     hidden_group_size_z
      - .offset:         42
        .size:           2
        .value_kind:     hidden_remainder_x
      - .offset:         44
        .size:           2
        .value_kind:     hidden_remainder_y
      - .offset:         46
        .size:           2
        .value_kind:     hidden_remainder_z
      - .offset:         64
        .size:           8
        .value_kind:     hidden_global_offset_x
      - .offset:         72
        .size:           8
        .value_kind:     hidden_global_offset_y
      - .offset:         80
        .size:           8
        .value_kind:     hidden_global_offset_z
      - .offset:         88
        .size:           2
        .value_kind:     hidden_grid_dims
    .group_segment_fixed_size: 0
    .kernarg_segment_align: 8
    .kernarg_segment_size: 280
    .language:       OpenCL C
    .language_version:
      - 2
      - 0
    .max_flat_workgroup_size: 1024
    .name:           _ZN9rocsolver6v33100L16reset_batch_infoI19rocblas_complex_numIdEiiPS3_EEvT2_lT0_T1_
    .private_segment_fixed_size: 0
    .sgpr_count:     14
    .sgpr_spill_count: 0
    .symbol:         _ZN9rocsolver6v33100L16reset_batch_infoI19rocblas_complex_numIdEiiPS3_EEvT2_lT0_T1_.kd
    .uniform_work_group_size: 1
    .uses_dynamic_stack: false
    .vgpr_count:     6
    .vgpr_spill_count: 0
    .wavefront_size: 32
    .workgroup_processor_mode: 1
  - .args:
      - .offset:         0
        .size:           4
        .value_kind:     by_value
      - .offset:         4
        .size:           4
        .value_kind:     by_value
      - .address_space:  global
        .offset:         8
        .size:           8
        .value_kind:     global_buffer
      - .offset:         16
        .size:           4
        .value_kind:     by_value
      - .offset:         20
        .size:           4
        .value_kind:     by_value
      - .offset:         24
        .size:           8
        .value_kind:     by_value
      - .offset:         32
        .size:           4
        .value_kind:     hidden_block_count_x
      - .offset:         36
        .size:           4
        .value_kind:     hidden_block_count_y
      - .offset:         40
        .size:           4
        .value_kind:     hidden_block_count_z
      - .offset:         44
        .size:           2
        .value_kind:     hidden_group_size_x
      - .offset:         46
        .size:           2
        .value_kind:     hidden_group_size_y
      - .offset:         48
        .size:           2
        .value_kind:     hidden_group_size_z
      - .offset:         50
        .size:           2
        .value_kind:     hidden_remainder_x
      - .offset:         52
        .size:           2
        .value_kind:     hidden_remainder_y
      - .offset:         54
        .size:           2
        .value_kind:     hidden_remainder_z
      - .offset:         72
        .size:           8
        .value_kind:     hidden_global_offset_x
      - .offset:         80
        .size:           8
        .value_kind:     hidden_global_offset_y
      - .offset:         88
        .size:           8
        .value_kind:     hidden_global_offset_z
      - .offset:         96
        .size:           2
        .value_kind:     hidden_grid_dims
    .group_segment_fixed_size: 0
    .kernarg_segment_align: 8
    .kernarg_segment_size: 288
    .language:       OpenCL C
    .language_version:
      - 2
      - 0
    .max_flat_workgroup_size: 1024
    .name:           _ZN9rocsolver6v33100L10init_identI19rocblas_complex_numIdEPS3_EEviiT0_iil
    .private_segment_fixed_size: 0
    .sgpr_count:     11
    .sgpr_spill_count: 0
    .symbol:         _ZN9rocsolver6v33100L10init_identI19rocblas_complex_numIdEPS3_EEviiT0_iil.kd
    .uniform_work_group_size: 1
    .uses_dynamic_stack: false
    .vgpr_count:     6
    .vgpr_spill_count: 0
    .wavefront_size: 32
    .workgroup_processor_mode: 1
  - .args:
      - .offset:         0
        .size:           4
        .value_kind:     by_value
      - .offset:         4
        .size:           4
        .value_kind:     by_value
      - .offset:         8
        .size:           4
        .value_kind:     by_value
      - .address_space:  global
        .offset:         16
        .size:           8
        .value_kind:     global_buffer
      - .offset:         24
        .size:           4
        .value_kind:     by_value
      - .offset:         28
        .size:           4
        .value_kind:     by_value
      - .offset:         32
        .size:           8
        .value_kind:     by_value
      - .address_space:  global
        .offset:         40
        .size:           8
        .value_kind:     global_buffer
      - .offset:         48
        .size:           4
        .value_kind:     by_value
      - .offset:         52
        .size:           4
        .value_kind:     by_value
      - .offset:         56
        .size:           4
        .value_kind:     hidden_block_count_x
      - .offset:         60
        .size:           4
        .value_kind:     hidden_block_count_y
      - .offset:         64
        .size:           4
        .value_kind:     hidden_block_count_z
      - .offset:         68
        .size:           2
        .value_kind:     hidden_group_size_x
      - .offset:         70
        .size:           2
        .value_kind:     hidden_group_size_y
      - .offset:         72
        .size:           2
        .value_kind:     hidden_group_size_z
      - .offset:         74
        .size:           2
        .value_kind:     hidden_remainder_x
      - .offset:         76
        .size:           2
        .value_kind:     hidden_remainder_y
      - .offset:         78
        .size:           2
        .value_kind:     hidden_remainder_z
      - .offset:         96
        .size:           8
        .value_kind:     hidden_global_offset_x
      - .offset:         104
        .size:           8
        .value_kind:     hidden_global_offset_y
      - .offset:         112
        .size:           8
        .value_kind:     hidden_global_offset_z
      - .offset:         120
        .size:           2
        .value_kind:     hidden_grid_dims
    .group_segment_fixed_size: 0
    .kernarg_segment_align: 8
    .kernarg_segment_size: 312
    .language:       OpenCL C
    .language_version:
      - 2
      - 0
    .max_flat_workgroup_size: 1024
    .name:           _ZN9rocsolver6v33100L8copy_matI19rocblas_complex_numIdEdLb1EPS3_TnNSt9enable_ifIX18rocblas_is_complexIT_EEiE4typeELi0EEEvNS0_17copymat_directionEiiT2_iilPT0_13rocblas_fill_17rocblas_diagonal_
    .private_segment_fixed_size: 0
    .sgpr_count:     20
    .sgpr_spill_count: 0
    .symbol:         _ZN9rocsolver6v33100L8copy_matI19rocblas_complex_numIdEdLb1EPS3_TnNSt9enable_ifIX18rocblas_is_complexIT_EEiE4typeELi0EEEvNS0_17copymat_directionEiiT2_iilPT0_13rocblas_fill_17rocblas_diagonal_.kd
    .uniform_work_group_size: 1
    .uses_dynamic_stack: false
    .vgpr_count:     9
    .vgpr_spill_count: 0
    .wavefront_size: 32
    .workgroup_processor_mode: 1
  - .args:
      - .offset:         0
        .size:           4
        .value_kind:     by_value
      - .offset:         4
        .size:           4
        .value_kind:     by_value
      - .offset:         8
        .size:           4
        .value_kind:     by_value
      - .address_space:  global
        .offset:         16
        .size:           8
        .value_kind:     global_buffer
      - .offset:         24
        .size:           4
        .value_kind:     by_value
      - .offset:         28
        .size:           4
        .value_kind:     by_value
      - .offset:         32
        .size:           8
        .value_kind:     by_value
      - .address_space:  global
        .offset:         40
        .size:           8
        .value_kind:     global_buffer
      - .offset:         48
        .size:           4
        .value_kind:     by_value
      - .offset:         52
        .size:           4
        .value_kind:     by_value
      - .offset:         56
        .size:           4
        .value_kind:     hidden_block_count_x
      - .offset:         60
        .size:           4
        .value_kind:     hidden_block_count_y
      - .offset:         64
        .size:           4
        .value_kind:     hidden_block_count_z
      - .offset:         68
        .size:           2
        .value_kind:     hidden_group_size_x
      - .offset:         70
        .size:           2
        .value_kind:     hidden_group_size_y
      - .offset:         72
        .size:           2
        .value_kind:     hidden_group_size_z
      - .offset:         74
        .size:           2
        .value_kind:     hidden_remainder_x
      - .offset:         76
        .size:           2
        .value_kind:     hidden_remainder_y
      - .offset:         78
        .size:           2
        .value_kind:     hidden_remainder_z
      - .offset:         96
        .size:           8
        .value_kind:     hidden_global_offset_x
      - .offset:         104
        .size:           8
        .value_kind:     hidden_global_offset_y
      - .offset:         112
        .size:           8
        .value_kind:     hidden_global_offset_z
      - .offset:         120
        .size:           2
        .value_kind:     hidden_grid_dims
    .group_segment_fixed_size: 0
    .kernarg_segment_align: 8
    .kernarg_segment_size: 312
    .language:       OpenCL C
    .language_version:
      - 2
      - 0
    .max_flat_workgroup_size: 1024
    .name:           _ZN9rocsolver6v33100L8copy_matI19rocblas_complex_numIdEdLb0EPS3_TnNSt9enable_ifIX18rocblas_is_complexIT_EEiE4typeELi0EEEvNS0_17copymat_directionEiiT2_iilPT0_13rocblas_fill_17rocblas_diagonal_
    .private_segment_fixed_size: 0
    .sgpr_count:     22
    .sgpr_spill_count: 0
    .symbol:         _ZN9rocsolver6v33100L8copy_matI19rocblas_complex_numIdEdLb0EPS3_TnNSt9enable_ifIX18rocblas_is_complexIT_EEiE4typeELi0EEEvNS0_17copymat_directionEiiT2_iilPT0_13rocblas_fill_17rocblas_diagonal_.kd
    .uniform_work_group_size: 1
    .uses_dynamic_stack: false
    .vgpr_count:     8
    .vgpr_spill_count: 0
    .wavefront_size: 32
    .workgroup_processor_mode: 1
  - .args:
      - .offset:         0
        .size:           4
        .value_kind:     by_value
      - .address_space:  global
        .offset:         8
        .size:           8
        .value_kind:     global_buffer
      - .offset:         16
        .size:           8
        .value_kind:     by_value
      - .address_space:  global
        .offset:         24
        .size:           8
        .value_kind:     global_buffer
      - .offset:         32
        .size:           4
        .value_kind:     by_value
      - .offset:         36
        .size:           4
        .value_kind:     by_value
      - .offset:         40
        .size:           8
        .value_kind:     by_value
      - .offset:         48
        .size:           4
        .value_kind:     by_value
      - .address_space:  global
        .offset:         56
        .size:           8
        .value_kind:     global_buffer
      - .address_space:  global
        .offset:         64
        .size:           8
        .value_kind:     global_buffer
      - .offset:         72
        .size:           4
        .value_kind:     hidden_block_count_x
      - .offset:         76
        .size:           4
        .value_kind:     hidden_block_count_y
      - .offset:         80
        .size:           4
        .value_kind:     hidden_block_count_z
      - .offset:         84
        .size:           2
        .value_kind:     hidden_group_size_x
      - .offset:         86
        .size:           2
        .value_kind:     hidden_group_size_y
      - .offset:         88
        .size:           2
        .value_kind:     hidden_group_size_z
      - .offset:         90
        .size:           2
        .value_kind:     hidden_remainder_x
      - .offset:         92
        .size:           2
        .value_kind:     hidden_remainder_y
      - .offset:         94
        .size:           2
        .value_kind:     hidden_remainder_z
      - .offset:         112
        .size:           8
        .value_kind:     hidden_global_offset_x
      - .offset:         120
        .size:           8
        .value_kind:     hidden_global_offset_y
      - .offset:         128
        .size:           8
        .value_kind:     hidden_global_offset_z
      - .offset:         136
        .size:           2
        .value_kind:     hidden_grid_dims
      - .offset:         152
        .size:           8
        .value_kind:     hidden_hostcall_buffer
    .group_segment_fixed_size: 4096
    .kernarg_segment_align: 8
    .kernarg_segment_size: 328
    .language:       OpenCL C
    .language_version:
      - 2
      - 0
    .max_flat_workgroup_size: 256
    .name:           _ZN9rocsolver6v33100L11stedcx_sortI19rocblas_complex_numIdEdPS3_EEviPT0_lT1_iiliPiS8_
    .private_segment_fixed_size: 64
    .sgpr_count:     58
    .sgpr_spill_count: 0
    .symbol:         _ZN9rocsolver6v33100L11stedcx_sortI19rocblas_complex_numIdEdPS3_EEviPT0_lT1_iiliPiS8_.kd
    .uniform_work_group_size: 1
    .uses_dynamic_stack: false
    .vgpr_count:     50
    .vgpr_spill_count: 0
    .wavefront_size: 32
    .workgroup_processor_mode: 1
amdhsa.target:   amdgcn-amd-amdhsa--gfx1030
amdhsa.version:
  - 1
  - 2
...

	.end_amdgpu_metadata
